;; amdgpu-corpus repo=ROCm/hip-tests kind=compiled arch=gfx1250 opt=O3
	.amdgcn_target "amdgcn-amd-amdhsa--gfx1250"
	.amdhsa_code_object_version 6
	.text
	.protected	_Z33kernel_cg_group_partition_dynamicjPibS_ ; -- Begin function _Z33kernel_cg_group_partition_dynamicjPibS_
	.globl	_Z33kernel_cg_group_partition_dynamicjPibS_
	.p2align	8
	.type	_Z33kernel_cg_group_partition_dynamicjPibS_,@function
_Z33kernel_cg_group_partition_dynamicjPibS_: ; @_Z33kernel_cg_group_partition_dynamicjPibS_
; %bb.0:
	s_mov_b64 s[2:3], src_shared_base
	s_clause 0x1
	s_load_b64 s[4:5], s[0:1], 0x2c
	s_load_b32 s2, s[0:1], 0x10
	v_bfe_u32 v1, v0, 10, 10
	v_bfe_u32 v2, v0, 20, 10
	s_load_b64 s[6:7], s[0:1], 0x18
	v_and_b32_e32 v0, 0x3ff, v0
	s_wait_kmcnt 0x0
	s_lshr_b32 s8, s4, 16
	s_and_b32 s4, s4, 0xffff
	v_mad_u32_u24 v1, v2, s8, v1
	s_and_b32 s2, 1, s2
	s_and_b32 s5, s5, 0xffff
	s_cmp_lg_u32 0, -1
	s_cselect_b32 s9, 0, 0
	v_mad_u32 v2, v1, s4, v0
	s_mul_i32 s4, s8, s4
	s_cselect_b32 s3, s3, 0
	s_cmp_eq_u32 s2, 1
	s_mul_i32 s8, s4, s5
	s_cselect_b32 s7, s7, s3
	s_cselect_b32 s6, s6, s9
	s_cmp_lt_u32 s8, 2
	s_mov_b32 s3, 0
	s_delay_alu instid0(VALU_DEP_1)
	v_mov_b32_e32 v36, v2
	s_cbranch_scc1 .LBB0_6
; %bb.1:
	v_dual_mov_b32 v36, v2 :: v_dual_ashrrev_i32 v3, 31, v2
	s_mov_b32 s4, s8
	s_delay_alu instid0(VALU_DEP_1)
	v_lshl_add_u64 v[0:1], v[2:3], 2, s[6:7]
.LBB0_2:                                ; =>This Inner Loop Header: Depth=1
	s_lshr_b32 s2, s4, 1
	s_mov_b32 s5, exec_lo
	flat_store_b32 v[0:1], v36
	s_wait_storecnt_dscnt 0x0
	s_barrier_signal -1
	s_barrier_wait -1
	s_wait_xcnt 0x0
	v_cmpx_gt_i32_e64 s2, v2
	s_cbranch_execz .LBB0_4
; %bb.3:                                ;   in Loop: Header=BB0_2 Depth=1
	v_lshl_add_u64 v[4:5], s[2:3], 2, v[0:1]
	flat_load_b32 v3, v[4:5]
	s_wait_loadcnt_dscnt 0x0
	v_add_nc_u32_e32 v36, v3, v36
.LBB0_4:                                ;   in Loop: Header=BB0_2 Depth=1
	s_or_b32 exec_lo, exec_lo, s5
	s_cmp_gt_u32 s4, 3
	s_barrier_signal -1
	s_barrier_wait -1
	s_cbranch_scc0 .LBB0_6
; %bb.5:                                ;   in Loop: Header=BB0_2 Depth=1
	s_mov_b32 s4, s2
	s_branch .LBB0_2
.LBB0_6:
	s_load_b32 s24, s[0:1], 0x0
	v_cmp_eq_u32_e64 s2, 0, v2
	s_add_nc_u64 s[4:5], s[0:1], 32
	s_and_saveexec_b32 s25, s2
	s_cbranch_execz .LBB0_377
; %bb.7:
	s_load_b64 s[10:11], s[4:5], 0x50
	v_mbcnt_lo_u32_b32 v3, -1, 0
	v_mov_b64_e32 v[0:1], 0
	s_delay_alu instid0(VALU_DEP_2) | instskip(NEXT) | instid1(VALU_DEP_1)
	v_readfirstlane_b32 s3, v3
	v_cmp_eq_u32_e64 s3, s3, v3
	s_and_saveexec_b32 s9, s3
	s_cbranch_execz .LBB0_13
; %bb.8:
	v_mov_b32_e32 v4, 0
	s_mov_b32 s12, exec_lo
	s_wait_kmcnt 0x0
	global_load_b64 v[8:9], v4, s[10:11] offset:24 scope:SCOPE_SYS
	s_wait_loadcnt 0x0
	global_inv scope:SCOPE_SYS
	s_clause 0x1
	global_load_b64 v[0:1], v4, s[10:11] offset:40
	global_load_b64 v[6:7], v4, s[10:11]
	s_wait_loadcnt 0x1
	v_and_b32_e32 v0, v0, v8
	v_and_b32_e32 v1, v1, v9
	s_delay_alu instid0(VALU_DEP_1) | instskip(SKIP_1) | instid1(VALU_DEP_1)
	v_mul_u64_e32 v[0:1], 24, v[0:1]
	s_wait_loadcnt 0x0
	v_add_nc_u64_e32 v[0:1], v[6:7], v[0:1]
	global_load_b64 v[6:7], v[0:1], off scope:SCOPE_SYS
	s_wait_xcnt 0x0
	s_wait_loadcnt 0x0
	global_atomic_cmpswap_b64 v[0:1], v4, v[6:9], s[10:11] offset:24 th:TH_ATOMIC_RETURN scope:SCOPE_SYS
	s_wait_loadcnt 0x0
	global_inv scope:SCOPE_SYS
	s_wait_xcnt 0x0
	v_cmpx_ne_u64_e64 v[0:1], v[8:9]
	s_cbranch_execz .LBB0_12
; %bb.9:
	s_mov_b32 s13, 0
.LBB0_10:                               ; =>This Inner Loop Header: Depth=1
	s_sleep 1
	s_clause 0x1
	global_load_b64 v[6:7], v4, s[10:11] offset:40
	global_load_b64 v[10:11], v4, s[10:11]
	v_mov_b64_e32 v[8:9], v[0:1]
	s_wait_loadcnt 0x1
	s_delay_alu instid0(VALU_DEP_1) | instskip(NEXT) | instid1(VALU_DEP_2)
	v_and_b32_e32 v0, v6, v8
	v_and_b32_e32 v5, v7, v9
	s_wait_loadcnt 0x0
	s_delay_alu instid0(VALU_DEP_2) | instskip(NEXT) | instid1(VALU_DEP_1)
	v_mad_nc_u64_u32 v[0:1], v0, 24, v[10:11]
	v_mad_u32 v1, v5, 24, v1
	global_load_b64 v[6:7], v[0:1], off scope:SCOPE_SYS
	s_wait_xcnt 0x0
	s_wait_loadcnt 0x0
	global_atomic_cmpswap_b64 v[0:1], v4, v[6:9], s[10:11] offset:24 th:TH_ATOMIC_RETURN scope:SCOPE_SYS
	s_wait_loadcnt 0x0
	global_inv scope:SCOPE_SYS
	v_cmp_eq_u64_e32 vcc_lo, v[0:1], v[8:9]
	s_or_b32 s13, vcc_lo, s13
	s_wait_xcnt 0x0
	s_and_not1_b32 exec_lo, exec_lo, s13
	s_cbranch_execnz .LBB0_10
; %bb.11:
	s_or_b32 exec_lo, exec_lo, s13
.LBB0_12:
	s_delay_alu instid0(SALU_CYCLE_1)
	s_or_b32 exec_lo, exec_lo, s12
.LBB0_13:
	s_delay_alu instid0(SALU_CYCLE_1)
	s_or_b32 exec_lo, exec_lo, s9
	v_readfirstlane_b32 s12, v0
	v_mov_b32_e32 v5, 0
	v_readfirstlane_b32 s13, v1
	s_mov_b32 s9, exec_lo
	s_wait_kmcnt 0x0
	s_clause 0x1
	global_load_b64 v[6:7], v5, s[10:11] offset:40
	global_load_b128 v[8:11], v5, s[10:11]
	s_wait_loadcnt 0x1
	v_and_b32_e32 v12, s12, v6
	v_and_b32_e32 v13, s13, v7
	s_delay_alu instid0(VALU_DEP_1) | instskip(SKIP_1) | instid1(VALU_DEP_1)
	v_mul_u64_e32 v[0:1], 24, v[12:13]
	s_wait_loadcnt 0x0
	v_add_nc_u64_e32 v[0:1], v[8:9], v[0:1]
	s_and_saveexec_b32 s14, s3
	s_cbranch_execz .LBB0_15
; %bb.14:
	v_mov_b64_e32 v[6:7], 0x100000002
	v_mov_b32_e32 v4, s9
	global_store_b128 v[0:1], v[4:7], off offset:8
.LBB0_15:
	s_wait_xcnt 0x0
	s_or_b32 exec_lo, exec_lo, s14
	v_lshlrev_b64_e32 v[6:7], 12, v[12:13]
	s_mov_b32 s16, 0
	v_dual_lshlrev_b32 v4, 6, v3 :: v_dual_mov_b32 v12, 33
	s_mov_b32 s17, s16
	s_mov_b32 s18, s16
	;; [unrolled: 1-line block ×3, first 2 shown]
	s_delay_alu instid0(VALU_DEP_2)
	v_add_nc_u64_e32 v[10:11], v[10:11], v[6:7]
	v_mov_b64_e32 v[16:17], s[16:17]
	v_mov_b64_e32 v[18:19], s[18:19]
	v_dual_mov_b32 v13, v5 :: v_dual_mov_b32 v14, v5
	v_mov_b32_e32 v15, v5
	v_readfirstlane_b32 s14, v10
	v_readfirstlane_b32 s15, v11
	s_clause 0x3
	global_store_b128 v4, v[12:15], s[14:15]
	global_store_b128 v4, v[16:19], s[14:15] offset:16
	global_store_b128 v4, v[16:19], s[14:15] offset:32
	;; [unrolled: 1-line block ×3, first 2 shown]
	s_wait_xcnt 0x0
	s_and_saveexec_b32 s9, s3
	s_cbranch_execz .LBB0_23
; %bb.16:
	v_dual_mov_b32 v14, 0 :: v_dual_mov_b32 v17, s13
	s_mov_b32 s14, exec_lo
	s_clause 0x1
	global_load_b64 v[18:19], v14, s[10:11] offset:32 scope:SCOPE_SYS
	global_load_b64 v[6:7], v14, s[10:11] offset:40
	s_wait_loadcnt 0x0
	v_dual_mov_b32 v16, s12 :: v_dual_bitop2_b32 v7, s13, v7 bitop3:0x40
	v_and_b32_e32 v6, s12, v6
	s_delay_alu instid0(VALU_DEP_1) | instskip(NEXT) | instid1(VALU_DEP_1)
	v_mul_u64_e32 v[6:7], 24, v[6:7]
	v_add_nc_u64_e32 v[12:13], v[8:9], v[6:7]
	global_store_b64 v[12:13], v[18:19], off
	global_wb scope:SCOPE_SYS
	s_wait_storecnt 0x0
	s_wait_xcnt 0x0
	global_atomic_cmpswap_b64 v[8:9], v14, v[16:19], s[10:11] offset:32 th:TH_ATOMIC_RETURN scope:SCOPE_SYS
	s_wait_loadcnt 0x0
	v_cmpx_ne_u64_e64 v[8:9], v[18:19]
	s_cbranch_execz .LBB0_19
; %bb.17:
	s_mov_b32 s15, 0
.LBB0_18:                               ; =>This Inner Loop Header: Depth=1
	v_dual_mov_b32 v6, s12 :: v_dual_mov_b32 v7, s13
	s_sleep 1
	global_store_b64 v[12:13], v[8:9], off
	global_wb scope:SCOPE_SYS
	s_wait_storecnt 0x0
	s_wait_xcnt 0x0
	global_atomic_cmpswap_b64 v[6:7], v14, v[6:9], s[10:11] offset:32 th:TH_ATOMIC_RETURN scope:SCOPE_SYS
	s_wait_loadcnt 0x0
	v_cmp_eq_u64_e32 vcc_lo, v[6:7], v[8:9]
	v_mov_b64_e32 v[8:9], v[6:7]
	s_or_b32 s15, vcc_lo, s15
	s_delay_alu instid0(SALU_CYCLE_1)
	s_and_not1_b32 exec_lo, exec_lo, s15
	s_cbranch_execnz .LBB0_18
.LBB0_19:
	s_or_b32 exec_lo, exec_lo, s14
	v_mov_b32_e32 v9, 0
	s_mov_b32 s15, exec_lo
	s_mov_b32 s14, exec_lo
	v_mbcnt_lo_u32_b32 v8, s15, 0
	global_load_b64 v[6:7], v9, s[10:11] offset:16
	s_wait_xcnt 0x0
	v_cmpx_eq_u32_e32 0, v8
	s_cbranch_execz .LBB0_21
; %bb.20:
	s_bcnt1_i32_b32 s15, s15
	s_delay_alu instid0(SALU_CYCLE_1)
	v_mov_b32_e32 v8, s15
	global_wb scope:SCOPE_SYS
	s_wait_loadcnt 0x0
	s_wait_storecnt 0x0
	global_atomic_add_u64 v[6:7], v[8:9], off offset:8 scope:SCOPE_SYS
.LBB0_21:
	s_wait_xcnt 0x0
	s_or_b32 exec_lo, exec_lo, s14
	s_wait_loadcnt 0x0
	global_load_b64 v[8:9], v[6:7], off offset:16
	s_wait_loadcnt 0x0
	v_cmp_eq_u64_e32 vcc_lo, 0, v[8:9]
	s_cbranch_vccnz .LBB0_23
; %bb.22:
	global_load_b32 v6, v[6:7], off offset:24
	s_wait_xcnt 0x0
	v_mov_b32_e32 v7, 0
	s_wait_loadcnt 0x0
	v_readfirstlane_b32 s14, v6
	global_wb scope:SCOPE_SYS
	s_wait_storecnt 0x0
	global_store_b64 v[8:9], v[6:7], off scope:SCOPE_SYS
	s_and_b32 m0, s14, 0xffffff
	s_sendmsg sendmsg(MSG_INTERRUPT)
.LBB0_23:
	s_wait_xcnt 0x0
	s_or_b32 exec_lo, exec_lo, s9
	v_add_nc_u64_e32 v[6:7], v[10:11], v[4:5]
	s_branch .LBB0_27
.LBB0_24:                               ;   in Loop: Header=BB0_27 Depth=1
	s_wait_xcnt 0x0
	s_or_b32 exec_lo, exec_lo, s9
	s_delay_alu instid0(VALU_DEP_1)
	v_readfirstlane_b32 s9, v5
	s_cmp_eq_u32 s9, 0
	s_cbranch_scc1 .LBB0_26
; %bb.25:                               ;   in Loop: Header=BB0_27 Depth=1
	s_sleep 1
	s_cbranch_execnz .LBB0_27
	s_branch .LBB0_29
.LBB0_26:
	s_branch .LBB0_29
.LBB0_27:                               ; =>This Inner Loop Header: Depth=1
	v_mov_b32_e32 v5, 1
	s_and_saveexec_b32 s9, s3
	s_cbranch_execz .LBB0_24
; %bb.28:                               ;   in Loop: Header=BB0_27 Depth=1
	global_load_b32 v5, v[0:1], off offset:20 scope:SCOPE_SYS
	s_wait_loadcnt 0x0
	global_inv scope:SCOPE_SYS
	v_and_b32_e32 v5, 1, v5
	s_branch .LBB0_24
.LBB0_29:
	global_load_b64 v[6:7], v[6:7], off
	s_wait_xcnt 0x0
	s_and_saveexec_b32 s9, s3
	s_cbranch_execz .LBB0_33
; %bb.30:
	v_mov_b32_e32 v5, 0
	s_clause 0x2
	global_load_b64 v[0:1], v5, s[10:11] offset:40
	global_load_b64 v[12:13], v5, s[10:11] offset:24 scope:SCOPE_SYS
	global_load_b64 v[8:9], v5, s[10:11]
	s_wait_loadcnt 0x2
	v_readfirstlane_b32 s14, v0
	v_readfirstlane_b32 s15, v1
	s_add_nc_u64 s[16:17], s[14:15], 1
	s_delay_alu instid0(SALU_CYCLE_1) | instskip(NEXT) | instid1(SALU_CYCLE_1)
	s_add_nc_u64 s[12:13], s[16:17], s[12:13]
	s_cmp_eq_u64 s[12:13], 0
	s_cselect_b32 s13, s17, s13
	s_cselect_b32 s12, s16, s12
	v_mov_b32_e32 v11, s13
	s_and_b64 s[14:15], s[12:13], s[14:15]
	v_mov_b32_e32 v10, s12
	s_mul_u64 s[14:15], s[14:15], 24
	s_wait_loadcnt 0x0
	v_add_nc_u64_e32 v[0:1], s[14:15], v[8:9]
	global_store_b64 v[0:1], v[12:13], off
	global_wb scope:SCOPE_SYS
	s_wait_storecnt 0x0
	s_wait_xcnt 0x0
	global_atomic_cmpswap_b64 v[10:11], v5, v[10:13], s[10:11] offset:24 th:TH_ATOMIC_RETURN scope:SCOPE_SYS
	s_wait_loadcnt 0x0
	v_cmp_ne_u64_e32 vcc_lo, v[10:11], v[12:13]
	s_and_b32 exec_lo, exec_lo, vcc_lo
	s_cbranch_execz .LBB0_33
; %bb.31:
	s_mov_b32 s3, 0
.LBB0_32:                               ; =>This Inner Loop Header: Depth=1
	v_dual_mov_b32 v8, s12 :: v_dual_mov_b32 v9, s13
	s_sleep 1
	global_store_b64 v[0:1], v[10:11], off
	global_wb scope:SCOPE_SYS
	s_wait_storecnt 0x0
	s_wait_xcnt 0x0
	global_atomic_cmpswap_b64 v[8:9], v5, v[8:11], s[10:11] offset:24 th:TH_ATOMIC_RETURN scope:SCOPE_SYS
	s_wait_loadcnt 0x0
	v_cmp_eq_u64_e32 vcc_lo, v[8:9], v[10:11]
	v_mov_b64_e32 v[10:11], v[8:9]
	s_or_b32 s3, vcc_lo, s3
	s_delay_alu instid0(SALU_CYCLE_1)
	s_and_not1_b32 exec_lo, exec_lo, s3
	s_cbranch_execnz .LBB0_32
.LBB0_33:
	s_or_b32 exec_lo, exec_lo, s9
	s_get_pc_i64 s[12:13]
	s_add_nc_u64 s[12:13], s[12:13], .str@rel64+4
	s_delay_alu instid0(SALU_CYCLE_1)
	s_cmp_lg_u64 s[12:13], 0
	s_cbranch_scc0 .LBB0_112
; %bb.34:
	v_mov_b64_e32 v[14:15], 0x100000002
	s_wait_loadcnt 0x0
	v_dual_mov_b32 v13, 0 :: v_dual_bitop2_b32 v0, 2, v6 bitop3:0x40
	v_dual_mov_b32 v9, v7 :: v_dual_bitop2_b32 v8, -3, v6 bitop3:0x40
	s_mov_b64 s[14:15], 0x42
	s_branch .LBB0_36
.LBB0_35:                               ;   in Loop: Header=BB0_36 Depth=1
	s_or_b32 exec_lo, exec_lo, s9
	s_sub_nc_u64 s[14:15], s[14:15], s[16:17]
	s_add_nc_u64 s[12:13], s[12:13], s[16:17]
	s_cmp_lg_u64 s[14:15], 0
	s_cbranch_scc0 .LBB0_111
.LBB0_36:                               ; =>This Loop Header: Depth=1
                                        ;     Child Loop BB0_39 Depth 2
                                        ;     Child Loop BB0_46 Depth 2
	;; [unrolled: 1-line block ×11, first 2 shown]
	v_min_u64 v[10:11], s[14:15], 56
	v_cmp_gt_u64_e64 s3, s[14:15], 7
	s_and_b32 vcc_lo, exec_lo, s3
	v_readfirstlane_b32 s16, v10
	v_readfirstlane_b32 s17, v11
	s_cbranch_vccnz .LBB0_41
; %bb.37:                               ;   in Loop: Header=BB0_36 Depth=1
	v_mov_b64_e32 v[10:11], 0
	s_cmp_eq_u64 s[14:15], 0
	s_cbranch_scc1 .LBB0_40
; %bb.38:                               ;   in Loop: Header=BB0_36 Depth=1
	s_mov_b64 s[18:19], 0
	s_mov_b64 s[20:21], 0
.LBB0_39:                               ;   Parent Loop BB0_36 Depth=1
                                        ; =>  This Inner Loop Header: Depth=2
	s_wait_xcnt 0x0
	s_add_nc_u64 s[22:23], s[12:13], s[20:21]
	s_add_nc_u64 s[20:21], s[20:21], 1
	global_load_u8 v1, v13, s[22:23]
	s_cmp_lg_u32 s16, s20
	s_wait_loadcnt 0x0
	v_and_b32_e32 v12, 0xffff, v1
	s_delay_alu instid0(VALU_DEP_1) | instskip(SKIP_1) | instid1(VALU_DEP_1)
	v_lshlrev_b64_e32 v[16:17], s18, v[12:13]
	s_add_nc_u64 s[18:19], s[18:19], 8
	v_or_b32_e32 v10, v16, v10
	s_delay_alu instid0(VALU_DEP_2)
	v_or_b32_e32 v11, v17, v11
	s_cbranch_scc1 .LBB0_39
.LBB0_40:                               ;   in Loop: Header=BB0_36 Depth=1
	s_mov_b64 s[20:21], s[12:13]
	s_mov_b32 s3, 0
	s_cbranch_execz .LBB0_42
	s_branch .LBB0_43
.LBB0_41:                               ;   in Loop: Header=BB0_36 Depth=1
	s_add_nc_u64 s[20:21], s[12:13], 8
	s_mov_b32 s3, 0
.LBB0_42:                               ;   in Loop: Header=BB0_36 Depth=1
	global_load_b64 v[10:11], v13, s[12:13]
	s_add_co_i32 s3, s16, -8
.LBB0_43:                               ;   in Loop: Header=BB0_36 Depth=1
	s_delay_alu instid0(SALU_CYCLE_1)
	s_cmp_gt_u32 s3, 7
	s_cbranch_scc1 .LBB0_48
; %bb.44:                               ;   in Loop: Header=BB0_36 Depth=1
	v_mov_b64_e32 v[16:17], 0
	s_cmp_eq_u32 s3, 0
	s_cbranch_scc1 .LBB0_47
; %bb.45:                               ;   in Loop: Header=BB0_36 Depth=1
	s_mov_b64 s[18:19], 0
	s_wait_xcnt 0x0
	s_mov_b64 s[22:23], 0
.LBB0_46:                               ;   Parent Loop BB0_36 Depth=1
                                        ; =>  This Inner Loop Header: Depth=2
	s_wait_xcnt 0x0
	s_add_nc_u64 s[26:27], s[20:21], s[22:23]
	s_add_nc_u64 s[22:23], s[22:23], 1
	global_load_u8 v1, v13, s[26:27]
	s_cmp_lg_u32 s3, s22
	s_wait_loadcnt 0x0
	v_and_b32_e32 v12, 0xffff, v1
	s_delay_alu instid0(VALU_DEP_1) | instskip(SKIP_1) | instid1(VALU_DEP_1)
	v_lshlrev_b64_e32 v[18:19], s18, v[12:13]
	s_add_nc_u64 s[18:19], s[18:19], 8
	v_or_b32_e32 v16, v18, v16
	s_delay_alu instid0(VALU_DEP_2)
	v_or_b32_e32 v17, v19, v17
	s_cbranch_scc1 .LBB0_46
.LBB0_47:                               ;   in Loop: Header=BB0_36 Depth=1
	s_mov_b64 s[18:19], s[20:21]
	s_mov_b32 s9, 0
	s_cbranch_execz .LBB0_49
	s_branch .LBB0_50
.LBB0_48:                               ;   in Loop: Header=BB0_36 Depth=1
	s_add_nc_u64 s[18:19], s[20:21], 8
                                        ; implicit-def: $vgpr16_vgpr17
	s_mov_b32 s9, 0
.LBB0_49:                               ;   in Loop: Header=BB0_36 Depth=1
	global_load_b64 v[16:17], v13, s[20:21]
	s_add_co_i32 s9, s3, -8
.LBB0_50:                               ;   in Loop: Header=BB0_36 Depth=1
	s_delay_alu instid0(SALU_CYCLE_1)
	s_cmp_gt_u32 s9, 7
	s_cbranch_scc1 .LBB0_55
; %bb.51:                               ;   in Loop: Header=BB0_36 Depth=1
	v_mov_b64_e32 v[18:19], 0
	s_cmp_eq_u32 s9, 0
	s_cbranch_scc1 .LBB0_54
; %bb.52:                               ;   in Loop: Header=BB0_36 Depth=1
	s_wait_xcnt 0x0
	s_mov_b64 s[20:21], 0
	s_mov_b64 s[22:23], 0
.LBB0_53:                               ;   Parent Loop BB0_36 Depth=1
                                        ; =>  This Inner Loop Header: Depth=2
	s_wait_xcnt 0x0
	s_add_nc_u64 s[26:27], s[18:19], s[22:23]
	s_add_nc_u64 s[22:23], s[22:23], 1
	global_load_u8 v1, v13, s[26:27]
	s_cmp_lg_u32 s9, s22
	s_wait_loadcnt 0x0
	v_and_b32_e32 v12, 0xffff, v1
	s_delay_alu instid0(VALU_DEP_1) | instskip(SKIP_1) | instid1(VALU_DEP_1)
	v_lshlrev_b64_e32 v[20:21], s20, v[12:13]
	s_add_nc_u64 s[20:21], s[20:21], 8
	v_or_b32_e32 v18, v20, v18
	s_delay_alu instid0(VALU_DEP_2)
	v_or_b32_e32 v19, v21, v19
	s_cbranch_scc1 .LBB0_53
.LBB0_54:                               ;   in Loop: Header=BB0_36 Depth=1
	s_wait_xcnt 0x0
	s_mov_b64 s[20:21], s[18:19]
	s_mov_b32 s3, 0
	s_cbranch_execz .LBB0_56
	s_branch .LBB0_57
.LBB0_55:                               ;   in Loop: Header=BB0_36 Depth=1
	s_wait_xcnt 0x0
	s_add_nc_u64 s[20:21], s[18:19], 8
	s_mov_b32 s3, 0
.LBB0_56:                               ;   in Loop: Header=BB0_36 Depth=1
	global_load_b64 v[18:19], v13, s[18:19]
	s_add_co_i32 s3, s9, -8
.LBB0_57:                               ;   in Loop: Header=BB0_36 Depth=1
	s_delay_alu instid0(SALU_CYCLE_1)
	s_cmp_gt_u32 s3, 7
	s_cbranch_scc1 .LBB0_62
; %bb.58:                               ;   in Loop: Header=BB0_36 Depth=1
	v_mov_b64_e32 v[20:21], 0
	s_cmp_eq_u32 s3, 0
	s_cbranch_scc1 .LBB0_61
; %bb.59:                               ;   in Loop: Header=BB0_36 Depth=1
	s_wait_xcnt 0x0
	s_mov_b64 s[18:19], 0
	s_mov_b64 s[22:23], 0
.LBB0_60:                               ;   Parent Loop BB0_36 Depth=1
                                        ; =>  This Inner Loop Header: Depth=2
	s_wait_xcnt 0x0
	s_add_nc_u64 s[26:27], s[20:21], s[22:23]
	s_add_nc_u64 s[22:23], s[22:23], 1
	global_load_u8 v1, v13, s[26:27]
	s_cmp_lg_u32 s3, s22
	s_wait_loadcnt 0x0
	v_and_b32_e32 v12, 0xffff, v1
	s_delay_alu instid0(VALU_DEP_1) | instskip(SKIP_1) | instid1(VALU_DEP_1)
	v_lshlrev_b64_e32 v[22:23], s18, v[12:13]
	s_add_nc_u64 s[18:19], s[18:19], 8
	v_or_b32_e32 v20, v22, v20
	s_delay_alu instid0(VALU_DEP_2)
	v_or_b32_e32 v21, v23, v21
	s_cbranch_scc1 .LBB0_60
.LBB0_61:                               ;   in Loop: Header=BB0_36 Depth=1
	s_wait_xcnt 0x0
	s_mov_b64 s[18:19], s[20:21]
	s_mov_b32 s9, 0
	s_cbranch_execz .LBB0_63
	s_branch .LBB0_64
.LBB0_62:                               ;   in Loop: Header=BB0_36 Depth=1
	s_wait_xcnt 0x0
	s_add_nc_u64 s[18:19], s[20:21], 8
                                        ; implicit-def: $vgpr20_vgpr21
	s_mov_b32 s9, 0
.LBB0_63:                               ;   in Loop: Header=BB0_36 Depth=1
	global_load_b64 v[20:21], v13, s[20:21]
	s_add_co_i32 s9, s3, -8
.LBB0_64:                               ;   in Loop: Header=BB0_36 Depth=1
	s_delay_alu instid0(SALU_CYCLE_1)
	s_cmp_gt_u32 s9, 7
	s_cbranch_scc1 .LBB0_69
; %bb.65:                               ;   in Loop: Header=BB0_36 Depth=1
	v_mov_b64_e32 v[22:23], 0
	s_cmp_eq_u32 s9, 0
	s_cbranch_scc1 .LBB0_68
; %bb.66:                               ;   in Loop: Header=BB0_36 Depth=1
	s_wait_xcnt 0x0
	s_mov_b64 s[20:21], 0
	s_mov_b64 s[22:23], 0
.LBB0_67:                               ;   Parent Loop BB0_36 Depth=1
                                        ; =>  This Inner Loop Header: Depth=2
	s_wait_xcnt 0x0
	s_add_nc_u64 s[26:27], s[18:19], s[22:23]
	s_add_nc_u64 s[22:23], s[22:23], 1
	global_load_u8 v1, v13, s[26:27]
	s_cmp_lg_u32 s9, s22
	s_wait_loadcnt 0x0
	v_and_b32_e32 v12, 0xffff, v1
	s_delay_alu instid0(VALU_DEP_1) | instskip(SKIP_1) | instid1(VALU_DEP_1)
	v_lshlrev_b64_e32 v[24:25], s20, v[12:13]
	s_add_nc_u64 s[20:21], s[20:21], 8
	v_or_b32_e32 v22, v24, v22
	s_delay_alu instid0(VALU_DEP_2)
	v_or_b32_e32 v23, v25, v23
	s_cbranch_scc1 .LBB0_67
.LBB0_68:                               ;   in Loop: Header=BB0_36 Depth=1
	s_wait_xcnt 0x0
	s_mov_b64 s[20:21], s[18:19]
	s_mov_b32 s3, 0
	s_cbranch_execz .LBB0_70
	s_branch .LBB0_71
.LBB0_69:                               ;   in Loop: Header=BB0_36 Depth=1
	s_wait_xcnt 0x0
	s_add_nc_u64 s[20:21], s[18:19], 8
	s_mov_b32 s3, 0
.LBB0_70:                               ;   in Loop: Header=BB0_36 Depth=1
	global_load_b64 v[22:23], v13, s[18:19]
	s_add_co_i32 s3, s9, -8
.LBB0_71:                               ;   in Loop: Header=BB0_36 Depth=1
	s_delay_alu instid0(SALU_CYCLE_1)
	s_cmp_gt_u32 s3, 7
	s_cbranch_scc1 .LBB0_76
; %bb.72:                               ;   in Loop: Header=BB0_36 Depth=1
	v_mov_b64_e32 v[24:25], 0
	s_cmp_eq_u32 s3, 0
	s_cbranch_scc1 .LBB0_75
; %bb.73:                               ;   in Loop: Header=BB0_36 Depth=1
	s_wait_xcnt 0x0
	s_mov_b64 s[18:19], 0
	s_mov_b64 s[22:23], 0
.LBB0_74:                               ;   Parent Loop BB0_36 Depth=1
                                        ; =>  This Inner Loop Header: Depth=2
	s_wait_xcnt 0x0
	s_add_nc_u64 s[26:27], s[20:21], s[22:23]
	s_add_nc_u64 s[22:23], s[22:23], 1
	global_load_u8 v1, v13, s[26:27]
	s_cmp_lg_u32 s3, s22
	s_wait_loadcnt 0x0
	v_and_b32_e32 v12, 0xffff, v1
	s_delay_alu instid0(VALU_DEP_1) | instskip(SKIP_1) | instid1(VALU_DEP_1)
	v_lshlrev_b64_e32 v[26:27], s18, v[12:13]
	s_add_nc_u64 s[18:19], s[18:19], 8
	v_or_b32_e32 v24, v26, v24
	s_delay_alu instid0(VALU_DEP_2)
	v_or_b32_e32 v25, v27, v25
	s_cbranch_scc1 .LBB0_74
.LBB0_75:                               ;   in Loop: Header=BB0_36 Depth=1
	s_wait_xcnt 0x0
	s_mov_b64 s[18:19], s[20:21]
	s_mov_b32 s9, 0
	s_cbranch_execz .LBB0_77
	s_branch .LBB0_78
.LBB0_76:                               ;   in Loop: Header=BB0_36 Depth=1
	s_wait_xcnt 0x0
	s_add_nc_u64 s[18:19], s[20:21], 8
                                        ; implicit-def: $vgpr24_vgpr25
	s_mov_b32 s9, 0
.LBB0_77:                               ;   in Loop: Header=BB0_36 Depth=1
	global_load_b64 v[24:25], v13, s[20:21]
	s_add_co_i32 s9, s3, -8
.LBB0_78:                               ;   in Loop: Header=BB0_36 Depth=1
	s_delay_alu instid0(SALU_CYCLE_1)
	s_cmp_gt_u32 s9, 7
	s_cbranch_scc1 .LBB0_83
; %bb.79:                               ;   in Loop: Header=BB0_36 Depth=1
	v_mov_b64_e32 v[26:27], 0
	s_cmp_eq_u32 s9, 0
	s_cbranch_scc1 .LBB0_82
; %bb.80:                               ;   in Loop: Header=BB0_36 Depth=1
	s_wait_xcnt 0x0
	s_mov_b64 s[20:21], 0
	s_mov_b64 s[22:23], s[18:19]
.LBB0_81:                               ;   Parent Loop BB0_36 Depth=1
                                        ; =>  This Inner Loop Header: Depth=2
	global_load_u8 v1, v13, s[22:23]
	s_add_co_i32 s9, s9, -1
	s_wait_xcnt 0x0
	s_add_nc_u64 s[22:23], s[22:23], 1
	s_cmp_lg_u32 s9, 0
	s_wait_loadcnt 0x0
	v_and_b32_e32 v12, 0xffff, v1
	s_delay_alu instid0(VALU_DEP_1) | instskip(SKIP_1) | instid1(VALU_DEP_1)
	v_lshlrev_b64_e32 v[28:29], s20, v[12:13]
	s_add_nc_u64 s[20:21], s[20:21], 8
	v_or_b32_e32 v26, v28, v26
	s_delay_alu instid0(VALU_DEP_2)
	v_or_b32_e32 v27, v29, v27
	s_cbranch_scc1 .LBB0_81
.LBB0_82:                               ;   in Loop: Header=BB0_36 Depth=1
	s_cbranch_execz .LBB0_84
	s_branch .LBB0_85
.LBB0_83:                               ;   in Loop: Header=BB0_36 Depth=1
.LBB0_84:                               ;   in Loop: Header=BB0_36 Depth=1
	global_load_b64 v[26:27], v13, s[18:19]
.LBB0_85:                               ;   in Loop: Header=BB0_36 Depth=1
	v_readfirstlane_b32 s3, v3
	v_mov_b64_e32 v[32:33], 0
	s_delay_alu instid0(VALU_DEP_2)
	v_cmp_eq_u32_e64 s3, s3, v3
	s_wait_xcnt 0x0
	s_and_saveexec_b32 s9, s3
	s_cbranch_execz .LBB0_91
; %bb.86:                               ;   in Loop: Header=BB0_36 Depth=1
	global_load_b64 v[30:31], v13, s[10:11] offset:24 scope:SCOPE_SYS
	s_wait_loadcnt 0x0
	global_inv scope:SCOPE_SYS
	s_clause 0x1
	global_load_b64 v[28:29], v13, s[10:11] offset:40
	global_load_b64 v[32:33], v13, s[10:11]
	s_mov_b32 s18, exec_lo
	s_wait_loadcnt 0x1
	v_and_b32_e32 v28, v28, v30
	v_and_b32_e32 v29, v29, v31
	s_delay_alu instid0(VALU_DEP_1) | instskip(SKIP_1) | instid1(VALU_DEP_1)
	v_mul_u64_e32 v[28:29], 24, v[28:29]
	s_wait_loadcnt 0x0
	v_add_nc_u64_e32 v[28:29], v[32:33], v[28:29]
	global_load_b64 v[28:29], v[28:29], off scope:SCOPE_SYS
	s_wait_xcnt 0x0
	s_wait_loadcnt 0x0
	global_atomic_cmpswap_b64 v[32:33], v13, v[28:31], s[10:11] offset:24 th:TH_ATOMIC_RETURN scope:SCOPE_SYS
	s_wait_loadcnt 0x0
	global_inv scope:SCOPE_SYS
	s_wait_xcnt 0x0
	v_cmpx_ne_u64_e64 v[32:33], v[30:31]
	s_cbranch_execz .LBB0_90
; %bb.87:                               ;   in Loop: Header=BB0_36 Depth=1
	s_mov_b32 s19, 0
.LBB0_88:                               ;   Parent Loop BB0_36 Depth=1
                                        ; =>  This Inner Loop Header: Depth=2
	s_sleep 1
	s_clause 0x1
	global_load_b64 v[28:29], v13, s[10:11] offset:40
	global_load_b64 v[34:35], v13, s[10:11]
	v_mov_b64_e32 v[30:31], v[32:33]
	s_wait_loadcnt 0x1
	s_delay_alu instid0(VALU_DEP_1) | instskip(SKIP_1) | instid1(VALU_DEP_1)
	v_and_b32_e32 v1, v28, v30
	s_wait_loadcnt 0x0
	v_mad_nc_u64_u32 v[32:33], v1, 24, v[34:35]
	s_delay_alu instid0(VALU_DEP_3) | instskip(NEXT) | instid1(VALU_DEP_1)
	v_and_b32_e32 v1, v29, v31
	v_mad_u32 v33, v1, 24, v33
	global_load_b64 v[28:29], v[32:33], off scope:SCOPE_SYS
	s_wait_xcnt 0x0
	s_wait_loadcnt 0x0
	global_atomic_cmpswap_b64 v[32:33], v13, v[28:31], s[10:11] offset:24 th:TH_ATOMIC_RETURN scope:SCOPE_SYS
	s_wait_loadcnt 0x0
	global_inv scope:SCOPE_SYS
	v_cmp_eq_u64_e32 vcc_lo, v[32:33], v[30:31]
	s_or_b32 s19, vcc_lo, s19
	s_wait_xcnt 0x0
	s_and_not1_b32 exec_lo, exec_lo, s19
	s_cbranch_execnz .LBB0_88
; %bb.89:                               ;   in Loop: Header=BB0_36 Depth=1
	s_or_b32 exec_lo, exec_lo, s19
.LBB0_90:                               ;   in Loop: Header=BB0_36 Depth=1
	s_delay_alu instid0(SALU_CYCLE_1)
	s_or_b32 exec_lo, exec_lo, s18
.LBB0_91:                               ;   in Loop: Header=BB0_36 Depth=1
	s_delay_alu instid0(SALU_CYCLE_1)
	s_or_b32 exec_lo, exec_lo, s9
	s_clause 0x1
	global_load_b64 v[34:35], v13, s[10:11] offset:40
	global_load_b128 v[28:31], v13, s[10:11]
	v_readfirstlane_b32 s18, v32
	v_readfirstlane_b32 s19, v33
	s_mov_b32 s9, exec_lo
	s_wait_loadcnt 0x1
	v_and_b32_e32 v34, s18, v34
	v_and_b32_e32 v35, s19, v35
	s_delay_alu instid0(VALU_DEP_1) | instskip(SKIP_1) | instid1(VALU_DEP_1)
	v_mul_u64_e32 v[32:33], 24, v[34:35]
	s_wait_loadcnt 0x0
	v_add_nc_u64_e32 v[32:33], v[28:29], v[32:33]
	s_wait_xcnt 0x0
	s_and_saveexec_b32 s20, s3
	s_cbranch_execz .LBB0_93
; %bb.92:                               ;   in Loop: Header=BB0_36 Depth=1
	v_mov_b32_e32 v12, s9
	global_store_b128 v[32:33], v[12:15], off offset:8
.LBB0_93:                               ;   in Loop: Header=BB0_36 Depth=1
	s_wait_xcnt 0x0
	s_or_b32 exec_lo, exec_lo, s20
	v_cmp_lt_u64_e64 vcc_lo, s[14:15], 57
	v_lshlrev_b64_e32 v[34:35], 12, v[34:35]
	v_and_b32_e32 v5, 0xffffff1f, v8
	s_lshl_b32 s9, s16, 2
	s_delay_alu instid0(SALU_CYCLE_1) | instskip(SKIP_1) | instid1(VALU_DEP_3)
	s_add_co_i32 s9, s9, 28
	v_cndmask_b32_e32 v1, 0, v0, vcc_lo
	v_add_nc_u64_e32 v[30:31], v[30:31], v[34:35]
	s_delay_alu instid0(VALU_DEP_2) | instskip(NEXT) | instid1(VALU_DEP_2)
	v_or_b32_e32 v1, v5, v1
	v_readfirstlane_b32 s20, v30
	s_delay_alu instid0(VALU_DEP_3) | instskip(NEXT) | instid1(VALU_DEP_3)
	v_readfirstlane_b32 s21, v31
	v_and_or_b32 v8, 0x1e0, s9, v1
	s_clause 0x3
	global_store_b128 v4, v[8:11], s[20:21]
	global_store_b128 v4, v[16:19], s[20:21] offset:16
	global_store_b128 v4, v[20:23], s[20:21] offset:32
	;; [unrolled: 1-line block ×3, first 2 shown]
	s_wait_xcnt 0x0
	s_and_saveexec_b32 s9, s3
	s_cbranch_execz .LBB0_101
; %bb.94:                               ;   in Loop: Header=BB0_36 Depth=1
	s_clause 0x1
	global_load_b64 v[20:21], v13, s[10:11] offset:32 scope:SCOPE_SYS
	global_load_b64 v[8:9], v13, s[10:11] offset:40
	s_mov_b32 s20, exec_lo
	v_dual_mov_b32 v18, s18 :: v_dual_mov_b32 v19, s19
	s_wait_loadcnt 0x0
	v_and_b32_e32 v9, s19, v9
	v_and_b32_e32 v8, s18, v8
	s_delay_alu instid0(VALU_DEP_1) | instskip(NEXT) | instid1(VALU_DEP_1)
	v_mul_u64_e32 v[8:9], 24, v[8:9]
	v_add_nc_u64_e32 v[16:17], v[28:29], v[8:9]
	global_store_b64 v[16:17], v[20:21], off
	global_wb scope:SCOPE_SYS
	s_wait_storecnt 0x0
	s_wait_xcnt 0x0
	global_atomic_cmpswap_b64 v[10:11], v13, v[18:21], s[10:11] offset:32 th:TH_ATOMIC_RETURN scope:SCOPE_SYS
	s_wait_loadcnt 0x0
	v_cmpx_ne_u64_e64 v[10:11], v[20:21]
	s_cbranch_execz .LBB0_97
; %bb.95:                               ;   in Loop: Header=BB0_36 Depth=1
	s_mov_b32 s21, 0
.LBB0_96:                               ;   Parent Loop BB0_36 Depth=1
                                        ; =>  This Inner Loop Header: Depth=2
	v_dual_mov_b32 v8, s18 :: v_dual_mov_b32 v9, s19
	s_sleep 1
	global_store_b64 v[16:17], v[10:11], off
	global_wb scope:SCOPE_SYS
	s_wait_storecnt 0x0
	s_wait_xcnt 0x0
	global_atomic_cmpswap_b64 v[8:9], v13, v[8:11], s[10:11] offset:32 th:TH_ATOMIC_RETURN scope:SCOPE_SYS
	s_wait_loadcnt 0x0
	v_cmp_eq_u64_e32 vcc_lo, v[8:9], v[10:11]
	v_mov_b64_e32 v[10:11], v[8:9]
	s_or_b32 s21, vcc_lo, s21
	s_delay_alu instid0(SALU_CYCLE_1)
	s_and_not1_b32 exec_lo, exec_lo, s21
	s_cbranch_execnz .LBB0_96
.LBB0_97:                               ;   in Loop: Header=BB0_36 Depth=1
	s_or_b32 exec_lo, exec_lo, s20
	global_load_b64 v[8:9], v13, s[10:11] offset:16
	s_mov_b32 s21, exec_lo
	s_mov_b32 s20, exec_lo
	v_mbcnt_lo_u32_b32 v1, s21, 0
	s_wait_xcnt 0x0
	s_delay_alu instid0(VALU_DEP_1)
	v_cmpx_eq_u32_e32 0, v1
	s_cbranch_execz .LBB0_99
; %bb.98:                               ;   in Loop: Header=BB0_36 Depth=1
	s_bcnt1_i32_b32 s21, s21
	s_delay_alu instid0(SALU_CYCLE_1)
	v_mov_b32_e32 v12, s21
	global_wb scope:SCOPE_SYS
	s_wait_loadcnt 0x0
	s_wait_storecnt 0x0
	global_atomic_add_u64 v[8:9], v[12:13], off offset:8 scope:SCOPE_SYS
.LBB0_99:                               ;   in Loop: Header=BB0_36 Depth=1
	s_wait_xcnt 0x0
	s_or_b32 exec_lo, exec_lo, s20
	s_wait_loadcnt 0x0
	global_load_b64 v[10:11], v[8:9], off offset:16
	s_wait_loadcnt 0x0
	v_cmp_eq_u64_e32 vcc_lo, 0, v[10:11]
	s_cbranch_vccnz .LBB0_101
; %bb.100:                              ;   in Loop: Header=BB0_36 Depth=1
	global_load_b32 v12, v[8:9], off offset:24
	s_wait_loadcnt 0x0
	v_readfirstlane_b32 s20, v12
	global_wb scope:SCOPE_SYS
	s_wait_storecnt 0x0
	s_wait_xcnt 0x0
	global_store_b64 v[10:11], v[12:13], off scope:SCOPE_SYS
	s_and_b32 m0, s20, 0xffffff
	s_sendmsg sendmsg(MSG_INTERRUPT)
.LBB0_101:                              ;   in Loop: Header=BB0_36 Depth=1
	s_wait_xcnt 0x0
	s_or_b32 exec_lo, exec_lo, s9
	v_mov_b32_e32 v5, v13
	s_delay_alu instid0(VALU_DEP_1)
	v_add_nc_u64_e32 v[8:9], v[30:31], v[4:5]
	s_branch .LBB0_105
.LBB0_102:                              ;   in Loop: Header=BB0_105 Depth=2
	s_wait_xcnt 0x0
	s_or_b32 exec_lo, exec_lo, s9
	s_delay_alu instid0(VALU_DEP_1)
	v_readfirstlane_b32 s9, v1
	s_cmp_eq_u32 s9, 0
	s_cbranch_scc1 .LBB0_104
; %bb.103:                              ;   in Loop: Header=BB0_105 Depth=2
	s_sleep 1
	s_cbranch_execnz .LBB0_105
	s_branch .LBB0_107
.LBB0_104:                              ;   in Loop: Header=BB0_36 Depth=1
	s_branch .LBB0_107
.LBB0_105:                              ;   Parent Loop BB0_36 Depth=1
                                        ; =>  This Inner Loop Header: Depth=2
	v_mov_b32_e32 v1, 1
	s_and_saveexec_b32 s9, s3
	s_cbranch_execz .LBB0_102
; %bb.106:                              ;   in Loop: Header=BB0_105 Depth=2
	global_load_b32 v1, v[32:33], off offset:20 scope:SCOPE_SYS
	s_wait_loadcnt 0x0
	global_inv scope:SCOPE_SYS
	v_and_b32_e32 v1, 1, v1
	s_branch .LBB0_102
.LBB0_107:                              ;   in Loop: Header=BB0_36 Depth=1
	global_load_b64 v[8:9], v[8:9], off
	s_wait_xcnt 0x0
	s_and_saveexec_b32 s9, s3
	s_cbranch_execz .LBB0_35
; %bb.108:                              ;   in Loop: Header=BB0_36 Depth=1
	s_clause 0x2
	global_load_b64 v[10:11], v13, s[10:11] offset:40
	global_load_b64 v[20:21], v13, s[10:11] offset:24 scope:SCOPE_SYS
	global_load_b64 v[16:17], v13, s[10:11]
	s_wait_loadcnt 0x2
	v_readfirstlane_b32 s20, v10
	v_readfirstlane_b32 s21, v11
	s_add_nc_u64 s[22:23], s[20:21], 1
	s_delay_alu instid0(SALU_CYCLE_1) | instskip(NEXT) | instid1(SALU_CYCLE_1)
	s_add_nc_u64 s[18:19], s[22:23], s[18:19]
	s_cmp_eq_u64 s[18:19], 0
	s_cselect_b32 s19, s23, s19
	s_cselect_b32 s18, s22, s18
	s_delay_alu instid0(SALU_CYCLE_1) | instskip(SKIP_1) | instid1(SALU_CYCLE_1)
	v_dual_mov_b32 v19, s19 :: v_dual_mov_b32 v18, s18
	s_and_b64 s[20:21], s[18:19], s[20:21]
	s_mul_u64 s[20:21], s[20:21], 24
	s_wait_loadcnt 0x0
	v_add_nc_u64_e32 v[10:11], s[20:21], v[16:17]
	global_store_b64 v[10:11], v[20:21], off
	global_wb scope:SCOPE_SYS
	s_wait_storecnt 0x0
	s_wait_xcnt 0x0
	global_atomic_cmpswap_b64 v[18:19], v13, v[18:21], s[10:11] offset:24 th:TH_ATOMIC_RETURN scope:SCOPE_SYS
	s_wait_loadcnt 0x0
	v_cmp_ne_u64_e32 vcc_lo, v[18:19], v[20:21]
	s_and_b32 exec_lo, exec_lo, vcc_lo
	s_cbranch_execz .LBB0_35
; %bb.109:                              ;   in Loop: Header=BB0_36 Depth=1
	s_mov_b32 s3, 0
.LBB0_110:                              ;   Parent Loop BB0_36 Depth=1
                                        ; =>  This Inner Loop Header: Depth=2
	v_dual_mov_b32 v16, s18 :: v_dual_mov_b32 v17, s19
	s_sleep 1
	global_store_b64 v[10:11], v[18:19], off
	global_wb scope:SCOPE_SYS
	s_wait_storecnt 0x0
	s_wait_xcnt 0x0
	global_atomic_cmpswap_b64 v[16:17], v13, v[16:19], s[10:11] offset:24 th:TH_ATOMIC_RETURN scope:SCOPE_SYS
	s_wait_loadcnt 0x0
	v_cmp_eq_u64_e32 vcc_lo, v[16:17], v[18:19]
	v_mov_b64_e32 v[18:19], v[16:17]
	s_or_b32 s3, vcc_lo, s3
	s_delay_alu instid0(SALU_CYCLE_1)
	s_and_not1_b32 exec_lo, exec_lo, s3
	s_cbranch_execnz .LBB0_110
	s_branch .LBB0_35
.LBB0_111:
	s_branch .LBB0_140
.LBB0_112:
                                        ; implicit-def: $vgpr8_vgpr9
	s_cbranch_execz .LBB0_140
; %bb.113:
	v_readfirstlane_b32 s3, v3
	v_mov_b64_e32 v[0:1], 0
	s_delay_alu instid0(VALU_DEP_2)
	v_cmp_eq_u32_e64 s3, s3, v3
	s_and_saveexec_b32 s9, s3
	s_cbranch_execz .LBB0_119
; %bb.114:
	v_mov_b32_e32 v5, 0
	s_mov_b32 s12, exec_lo
	global_load_b64 v[10:11], v5, s[10:11] offset:24 scope:SCOPE_SYS
	s_wait_loadcnt 0x0
	global_inv scope:SCOPE_SYS
	s_clause 0x1
	global_load_b64 v[0:1], v5, s[10:11] offset:40
	global_load_b64 v[8:9], v5, s[10:11]
	s_wait_loadcnt 0x1
	v_and_b32_e32 v0, v0, v10
	v_and_b32_e32 v1, v1, v11
	s_delay_alu instid0(VALU_DEP_1) | instskip(SKIP_1) | instid1(VALU_DEP_1)
	v_mul_u64_e32 v[0:1], 24, v[0:1]
	s_wait_loadcnt 0x0
	v_add_nc_u64_e32 v[0:1], v[8:9], v[0:1]
	global_load_b64 v[8:9], v[0:1], off scope:SCOPE_SYS
	s_wait_xcnt 0x0
	s_wait_loadcnt 0x0
	global_atomic_cmpswap_b64 v[0:1], v5, v[8:11], s[10:11] offset:24 th:TH_ATOMIC_RETURN scope:SCOPE_SYS
	s_wait_loadcnt 0x0
	global_inv scope:SCOPE_SYS
	s_wait_xcnt 0x0
	v_cmpx_ne_u64_e64 v[0:1], v[10:11]
	s_cbranch_execz .LBB0_118
; %bb.115:
	s_mov_b32 s13, 0
.LBB0_116:                              ; =>This Inner Loop Header: Depth=1
	s_sleep 1
	s_clause 0x1
	global_load_b64 v[8:9], v5, s[10:11] offset:40
	global_load_b64 v[12:13], v5, s[10:11]
	v_mov_b64_e32 v[10:11], v[0:1]
	s_wait_loadcnt 0x1
	s_delay_alu instid0(VALU_DEP_1) | instskip(NEXT) | instid1(VALU_DEP_2)
	v_and_b32_e32 v0, v8, v10
	v_and_b32_e32 v8, v9, v11
	s_wait_loadcnt 0x0
	s_delay_alu instid0(VALU_DEP_2) | instskip(NEXT) | instid1(VALU_DEP_1)
	v_mad_nc_u64_u32 v[0:1], v0, 24, v[12:13]
	v_mad_u32 v1, v8, 24, v1
	global_load_b64 v[8:9], v[0:1], off scope:SCOPE_SYS
	s_wait_xcnt 0x0
	s_wait_loadcnt 0x0
	global_atomic_cmpswap_b64 v[0:1], v5, v[8:11], s[10:11] offset:24 th:TH_ATOMIC_RETURN scope:SCOPE_SYS
	s_wait_loadcnt 0x0
	global_inv scope:SCOPE_SYS
	v_cmp_eq_u64_e32 vcc_lo, v[0:1], v[10:11]
	s_or_b32 s13, vcc_lo, s13
	s_wait_xcnt 0x0
	s_and_not1_b32 exec_lo, exec_lo, s13
	s_cbranch_execnz .LBB0_116
; %bb.117:
	s_or_b32 exec_lo, exec_lo, s13
.LBB0_118:
	s_delay_alu instid0(SALU_CYCLE_1)
	s_or_b32 exec_lo, exec_lo, s12
.LBB0_119:
	s_delay_alu instid0(SALU_CYCLE_1)
	s_or_b32 exec_lo, exec_lo, s9
	v_readfirstlane_b32 s12, v0
	v_mov_b32_e32 v5, 0
	v_readfirstlane_b32 s13, v1
	s_mov_b32 s9, exec_lo
	s_wait_loadcnt 0x0
	s_clause 0x1
	global_load_b64 v[8:9], v5, s[10:11] offset:40
	global_load_b128 v[10:13], v5, s[10:11]
	s_wait_loadcnt 0x1
	v_and_b32_e32 v8, s12, v8
	v_and_b32_e32 v9, s13, v9
	s_delay_alu instid0(VALU_DEP_1) | instskip(SKIP_1) | instid1(VALU_DEP_1)
	v_mul_u64_e32 v[0:1], 24, v[8:9]
	s_wait_loadcnt 0x0
	v_add_nc_u64_e32 v[0:1], v[10:11], v[0:1]
	s_wait_xcnt 0x0
	s_and_saveexec_b32 s14, s3
	s_cbranch_execz .LBB0_121
; %bb.120:
	v_mov_b64_e32 v[16:17], 0x100000002
	v_dual_mov_b32 v14, s9 :: v_dual_mov_b32 v15, v5
	global_store_b128 v[0:1], v[14:17], off offset:8
.LBB0_121:
	s_wait_xcnt 0x0
	s_or_b32 exec_lo, exec_lo, s14
	v_lshlrev_b64_e32 v[8:9], 12, v[8:9]
	s_mov_b32 s16, 0
	v_and_or_b32 v6, 0xffffff1f, v6, 32
	s_mov_b32 s17, s16
	s_mov_b32 s18, s16
	;; [unrolled: 1-line block ×3, first 2 shown]
	v_mov_b64_e32 v[14:15], s[16:17]
	v_add_nc_u64_e32 v[12:13], v[12:13], v[8:9]
	v_mov_b64_e32 v[16:17], s[18:19]
	v_dual_mov_b32 v8, v5 :: v_dual_mov_b32 v9, v5
	s_delay_alu instid0(VALU_DEP_3) | instskip(NEXT) | instid1(VALU_DEP_4)
	v_readfirstlane_b32 s14, v12
	v_readfirstlane_b32 s15, v13
	s_clause 0x3
	global_store_b128 v4, v[6:9], s[14:15]
	global_store_b128 v4, v[14:17], s[14:15] offset:16
	global_store_b128 v4, v[14:17], s[14:15] offset:32
	;; [unrolled: 1-line block ×3, first 2 shown]
	s_wait_xcnt 0x0
	s_and_saveexec_b32 s9, s3
	s_cbranch_execz .LBB0_129
; %bb.122:
	v_dual_mov_b32 v14, 0 :: v_dual_mov_b32 v17, s13
	s_mov_b32 s14, exec_lo
	s_clause 0x1
	global_load_b64 v[18:19], v14, s[10:11] offset:32 scope:SCOPE_SYS
	global_load_b64 v[6:7], v14, s[10:11] offset:40
	s_wait_loadcnt 0x0
	v_dual_mov_b32 v16, s12 :: v_dual_bitop2_b32 v7, s13, v7 bitop3:0x40
	v_and_b32_e32 v6, s12, v6
	s_delay_alu instid0(VALU_DEP_1) | instskip(NEXT) | instid1(VALU_DEP_1)
	v_mul_u64_e32 v[6:7], 24, v[6:7]
	v_add_nc_u64_e32 v[10:11], v[10:11], v[6:7]
	global_store_b64 v[10:11], v[18:19], off
	global_wb scope:SCOPE_SYS
	s_wait_storecnt 0x0
	s_wait_xcnt 0x0
	global_atomic_cmpswap_b64 v[8:9], v14, v[16:19], s[10:11] offset:32 th:TH_ATOMIC_RETURN scope:SCOPE_SYS
	s_wait_loadcnt 0x0
	v_cmpx_ne_u64_e64 v[8:9], v[18:19]
	s_cbranch_execz .LBB0_125
; %bb.123:
	s_mov_b32 s15, 0
.LBB0_124:                              ; =>This Inner Loop Header: Depth=1
	v_dual_mov_b32 v6, s12 :: v_dual_mov_b32 v7, s13
	s_sleep 1
	global_store_b64 v[10:11], v[8:9], off
	global_wb scope:SCOPE_SYS
	s_wait_storecnt 0x0
	s_wait_xcnt 0x0
	global_atomic_cmpswap_b64 v[6:7], v14, v[6:9], s[10:11] offset:32 th:TH_ATOMIC_RETURN scope:SCOPE_SYS
	s_wait_loadcnt 0x0
	v_cmp_eq_u64_e32 vcc_lo, v[6:7], v[8:9]
	v_mov_b64_e32 v[8:9], v[6:7]
	s_or_b32 s15, vcc_lo, s15
	s_delay_alu instid0(SALU_CYCLE_1)
	s_and_not1_b32 exec_lo, exec_lo, s15
	s_cbranch_execnz .LBB0_124
.LBB0_125:
	s_or_b32 exec_lo, exec_lo, s14
	v_mov_b32_e32 v9, 0
	s_mov_b32 s15, exec_lo
	s_mov_b32 s14, exec_lo
	v_mbcnt_lo_u32_b32 v8, s15, 0
	global_load_b64 v[6:7], v9, s[10:11] offset:16
	s_wait_xcnt 0x0
	v_cmpx_eq_u32_e32 0, v8
	s_cbranch_execz .LBB0_127
; %bb.126:
	s_bcnt1_i32_b32 s15, s15
	s_delay_alu instid0(SALU_CYCLE_1)
	v_mov_b32_e32 v8, s15
	global_wb scope:SCOPE_SYS
	s_wait_loadcnt 0x0
	s_wait_storecnt 0x0
	global_atomic_add_u64 v[6:7], v[8:9], off offset:8 scope:SCOPE_SYS
.LBB0_127:
	s_wait_xcnt 0x0
	s_or_b32 exec_lo, exec_lo, s14
	s_wait_loadcnt 0x0
	global_load_b64 v[8:9], v[6:7], off offset:16
	s_wait_loadcnt 0x0
	v_cmp_eq_u64_e32 vcc_lo, 0, v[8:9]
	s_cbranch_vccnz .LBB0_129
; %bb.128:
	global_load_b32 v6, v[6:7], off offset:24
	s_wait_xcnt 0x0
	v_mov_b32_e32 v7, 0
	s_wait_loadcnt 0x0
	v_readfirstlane_b32 s14, v6
	global_wb scope:SCOPE_SYS
	s_wait_storecnt 0x0
	global_store_b64 v[8:9], v[6:7], off scope:SCOPE_SYS
	s_and_b32 m0, s14, 0xffffff
	s_sendmsg sendmsg(MSG_INTERRUPT)
.LBB0_129:
	s_wait_xcnt 0x0
	s_or_b32 exec_lo, exec_lo, s9
	v_add_nc_u64_e32 v[6:7], v[12:13], v[4:5]
	s_branch .LBB0_133
.LBB0_130:                              ;   in Loop: Header=BB0_133 Depth=1
	s_wait_xcnt 0x0
	s_or_b32 exec_lo, exec_lo, s9
	s_delay_alu instid0(VALU_DEP_1)
	v_readfirstlane_b32 s9, v5
	s_cmp_eq_u32 s9, 0
	s_cbranch_scc1 .LBB0_132
; %bb.131:                              ;   in Loop: Header=BB0_133 Depth=1
	s_sleep 1
	s_cbranch_execnz .LBB0_133
	s_branch .LBB0_135
.LBB0_132:
	s_branch .LBB0_135
.LBB0_133:                              ; =>This Inner Loop Header: Depth=1
	v_mov_b32_e32 v5, 1
	s_and_saveexec_b32 s9, s3
	s_cbranch_execz .LBB0_130
; %bb.134:                              ;   in Loop: Header=BB0_133 Depth=1
	global_load_b32 v5, v[0:1], off offset:20 scope:SCOPE_SYS
	s_wait_loadcnt 0x0
	global_inv scope:SCOPE_SYS
	v_and_b32_e32 v5, 1, v5
	s_branch .LBB0_130
.LBB0_135:
	global_load_b64 v[8:9], v[6:7], off
	s_wait_xcnt 0x0
	s_and_saveexec_b32 s9, s3
	s_cbranch_execz .LBB0_139
; %bb.136:
	v_mov_b32_e32 v5, 0
	s_clause 0x2
	global_load_b64 v[0:1], v5, s[10:11] offset:40
	global_load_b64 v[14:15], v5, s[10:11] offset:24 scope:SCOPE_SYS
	global_load_b64 v[6:7], v5, s[10:11]
	s_wait_loadcnt 0x2
	v_readfirstlane_b32 s14, v0
	v_readfirstlane_b32 s15, v1
	s_add_nc_u64 s[16:17], s[14:15], 1
	s_delay_alu instid0(SALU_CYCLE_1) | instskip(NEXT) | instid1(SALU_CYCLE_1)
	s_add_nc_u64 s[12:13], s[16:17], s[12:13]
	s_cmp_eq_u64 s[12:13], 0
	s_cselect_b32 s13, s17, s13
	s_cselect_b32 s12, s16, s12
	v_mov_b32_e32 v13, s13
	s_and_b64 s[14:15], s[12:13], s[14:15]
	v_mov_b32_e32 v12, s12
	s_mul_u64 s[14:15], s[14:15], 24
	s_wait_loadcnt 0x0
	v_add_nc_u64_e32 v[0:1], s[14:15], v[6:7]
	global_store_b64 v[0:1], v[14:15], off
	global_wb scope:SCOPE_SYS
	s_wait_storecnt 0x0
	s_wait_xcnt 0x0
	global_atomic_cmpswap_b64 v[12:13], v5, v[12:15], s[10:11] offset:24 th:TH_ATOMIC_RETURN scope:SCOPE_SYS
	s_wait_loadcnt 0x0
	v_cmp_ne_u64_e32 vcc_lo, v[12:13], v[14:15]
	s_and_b32 exec_lo, exec_lo, vcc_lo
	s_cbranch_execz .LBB0_139
; %bb.137:
	s_mov_b32 s3, 0
.LBB0_138:                              ; =>This Inner Loop Header: Depth=1
	v_dual_mov_b32 v10, s12 :: v_dual_mov_b32 v11, s13
	s_sleep 1
	global_store_b64 v[0:1], v[12:13], off
	global_wb scope:SCOPE_SYS
	s_wait_storecnt 0x0
	s_wait_xcnt 0x0
	global_atomic_cmpswap_b64 v[6:7], v5, v[10:13], s[10:11] offset:24 th:TH_ATOMIC_RETURN scope:SCOPE_SYS
	s_wait_loadcnt 0x0
	v_cmp_eq_u64_e32 vcc_lo, v[6:7], v[12:13]
	v_mov_b64_e32 v[12:13], v[6:7]
	s_or_b32 s3, vcc_lo, s3
	s_delay_alu instid0(SALU_CYCLE_1)
	s_and_not1_b32 exec_lo, exec_lo, s3
	s_cbranch_execnz .LBB0_138
.LBB0_139:
	s_or_b32 exec_lo, exec_lo, s9
.LBB0_140:
	v_readfirstlane_b32 s3, v3
	v_mov_b64_e32 v[0:1], 0
	s_delay_alu instid0(VALU_DEP_2)
	v_cmp_eq_u32_e64 s3, s3, v3
	s_and_saveexec_b32 s9, s3
	s_cbranch_execz .LBB0_146
; %bb.141:
	v_mov_b32_e32 v5, 0
	s_mov_b32 s12, exec_lo
	global_load_b64 v[12:13], v5, s[10:11] offset:24 scope:SCOPE_SYS
	s_wait_loadcnt 0x0
	global_inv scope:SCOPE_SYS
	s_clause 0x1
	global_load_b64 v[0:1], v5, s[10:11] offset:40
	global_load_b64 v[6:7], v5, s[10:11]
	s_wait_loadcnt 0x1
	v_and_b32_e32 v0, v0, v12
	v_and_b32_e32 v1, v1, v13
	s_delay_alu instid0(VALU_DEP_1) | instskip(SKIP_1) | instid1(VALU_DEP_1)
	v_mul_u64_e32 v[0:1], 24, v[0:1]
	s_wait_loadcnt 0x0
	v_add_nc_u64_e32 v[0:1], v[6:7], v[0:1]
	global_load_b64 v[10:11], v[0:1], off scope:SCOPE_SYS
	s_wait_xcnt 0x0
	s_wait_loadcnt 0x0
	global_atomic_cmpswap_b64 v[0:1], v5, v[10:13], s[10:11] offset:24 th:TH_ATOMIC_RETURN scope:SCOPE_SYS
	s_wait_loadcnt 0x0
	global_inv scope:SCOPE_SYS
	s_wait_xcnt 0x0
	v_cmpx_ne_u64_e64 v[0:1], v[12:13]
	s_cbranch_execz .LBB0_145
; %bb.142:
	s_mov_b32 s13, 0
.LBB0_143:                              ; =>This Inner Loop Header: Depth=1
	s_sleep 1
	s_clause 0x1
	global_load_b64 v[6:7], v5, s[10:11] offset:40
	global_load_b64 v[10:11], v5, s[10:11]
	v_mov_b64_e32 v[12:13], v[0:1]
	s_wait_loadcnt 0x1
	s_delay_alu instid0(VALU_DEP_1) | instskip(NEXT) | instid1(VALU_DEP_2)
	v_and_b32_e32 v0, v6, v12
	v_and_b32_e32 v6, v7, v13
	s_wait_loadcnt 0x0
	s_delay_alu instid0(VALU_DEP_2) | instskip(NEXT) | instid1(VALU_DEP_1)
	v_mad_nc_u64_u32 v[0:1], v0, 24, v[10:11]
	v_mad_u32 v1, v6, 24, v1
	global_load_b64 v[10:11], v[0:1], off scope:SCOPE_SYS
	s_wait_xcnt 0x0
	s_wait_loadcnt 0x0
	global_atomic_cmpswap_b64 v[0:1], v5, v[10:13], s[10:11] offset:24 th:TH_ATOMIC_RETURN scope:SCOPE_SYS
	s_wait_loadcnt 0x0
	global_inv scope:SCOPE_SYS
	v_cmp_eq_u64_e32 vcc_lo, v[0:1], v[12:13]
	s_or_b32 s13, vcc_lo, s13
	s_wait_xcnt 0x0
	s_and_not1_b32 exec_lo, exec_lo, s13
	s_cbranch_execnz .LBB0_143
; %bb.144:
	s_or_b32 exec_lo, exec_lo, s13
.LBB0_145:
	s_delay_alu instid0(SALU_CYCLE_1)
	s_or_b32 exec_lo, exec_lo, s12
.LBB0_146:
	s_delay_alu instid0(SALU_CYCLE_1)
	s_or_b32 exec_lo, exec_lo, s9
	v_readfirstlane_b32 s12, v0
	v_mov_b32_e32 v5, 0
	v_readfirstlane_b32 s13, v1
	s_mov_b32 s9, exec_lo
	s_wait_loadcnt 0x0
	s_clause 0x1
	global_load_b64 v[6:7], v5, s[10:11] offset:40
	global_load_b128 v[12:15], v5, s[10:11]
	s_wait_loadcnt 0x1
	v_and_b32_e32 v6, s12, v6
	v_and_b32_e32 v7, s13, v7
	s_delay_alu instid0(VALU_DEP_1) | instskip(SKIP_1) | instid1(VALU_DEP_1)
	v_mul_u64_e32 v[0:1], 24, v[6:7]
	s_wait_loadcnt 0x0
	v_add_nc_u64_e32 v[0:1], v[12:13], v[0:1]
	s_wait_xcnt 0x0
	s_and_saveexec_b32 s14, s3
	s_cbranch_execz .LBB0_148
; %bb.147:
	v_mov_b64_e32 v[18:19], 0x100000002
	v_dual_mov_b32 v16, s9 :: v_dual_mov_b32 v17, v5
	global_store_b128 v[0:1], v[16:19], off offset:8
.LBB0_148:
	s_wait_xcnt 0x0
	s_or_b32 exec_lo, exec_lo, s14
	v_lshlrev_b64_e32 v[6:7], 12, v[6:7]
	s_mov_b32 s16, 0
	s_add_co_i32 s9, s8, -1
	s_mov_b32 s17, s16
	s_mov_b32 s18, s16
	;; [unrolled: 1-line block ×3, first 2 shown]
	v_mov_b64_e32 v[16:17], s[16:17]
	v_add_nc_u64_e32 v[14:15], v[14:15], v[6:7]
	v_mov_b64_e32 v[18:19], s[18:19]
	v_and_or_b32 v8, 0xffffff1f, v8, 32
	v_dual_mov_b32 v11, v5 :: v_dual_mov_b32 v10, s9
	s_delay_alu instid0(VALU_DEP_4)
	v_readfirstlane_b32 s14, v14
	v_readfirstlane_b32 s15, v15
	s_clause 0x3
	global_store_b128 v4, v[8:11], s[14:15]
	global_store_b128 v4, v[16:19], s[14:15] offset:16
	global_store_b128 v4, v[16:19], s[14:15] offset:32
	;; [unrolled: 1-line block ×3, first 2 shown]
	s_wait_xcnt 0x0
	s_and_saveexec_b32 s9, s3
	s_cbranch_execz .LBB0_156
; %bb.149:
	v_dual_mov_b32 v16, 0 :: v_dual_mov_b32 v19, s13
	s_mov_b32 s14, exec_lo
	s_clause 0x1
	global_load_b64 v[20:21], v16, s[10:11] offset:32 scope:SCOPE_SYS
	global_load_b64 v[6:7], v16, s[10:11] offset:40
	s_wait_loadcnt 0x0
	v_dual_mov_b32 v18, s12 :: v_dual_bitop2_b32 v7, s13, v7 bitop3:0x40
	v_and_b32_e32 v6, s12, v6
	s_delay_alu instid0(VALU_DEP_1) | instskip(NEXT) | instid1(VALU_DEP_1)
	v_mul_u64_e32 v[6:7], 24, v[6:7]
	v_add_nc_u64_e32 v[10:11], v[12:13], v[6:7]
	global_store_b64 v[10:11], v[20:21], off
	global_wb scope:SCOPE_SYS
	s_wait_storecnt 0x0
	s_wait_xcnt 0x0
	global_atomic_cmpswap_b64 v[8:9], v16, v[18:21], s[10:11] offset:32 th:TH_ATOMIC_RETURN scope:SCOPE_SYS
	s_wait_loadcnt 0x0
	v_cmpx_ne_u64_e64 v[8:9], v[20:21]
	s_cbranch_execz .LBB0_152
; %bb.150:
	s_mov_b32 s15, 0
.LBB0_151:                              ; =>This Inner Loop Header: Depth=1
	v_dual_mov_b32 v6, s12 :: v_dual_mov_b32 v7, s13
	s_sleep 1
	global_store_b64 v[10:11], v[8:9], off
	global_wb scope:SCOPE_SYS
	s_wait_storecnt 0x0
	s_wait_xcnt 0x0
	global_atomic_cmpswap_b64 v[6:7], v16, v[6:9], s[10:11] offset:32 th:TH_ATOMIC_RETURN scope:SCOPE_SYS
	s_wait_loadcnt 0x0
	v_cmp_eq_u64_e32 vcc_lo, v[6:7], v[8:9]
	v_mov_b64_e32 v[8:9], v[6:7]
	s_or_b32 s15, vcc_lo, s15
	s_delay_alu instid0(SALU_CYCLE_1)
	s_and_not1_b32 exec_lo, exec_lo, s15
	s_cbranch_execnz .LBB0_151
.LBB0_152:
	s_or_b32 exec_lo, exec_lo, s14
	v_mov_b32_e32 v9, 0
	s_mov_b32 s15, exec_lo
	s_mov_b32 s14, exec_lo
	v_mbcnt_lo_u32_b32 v8, s15, 0
	global_load_b64 v[6:7], v9, s[10:11] offset:16
	s_wait_xcnt 0x0
	v_cmpx_eq_u32_e32 0, v8
	s_cbranch_execz .LBB0_154
; %bb.153:
	s_bcnt1_i32_b32 s15, s15
	s_delay_alu instid0(SALU_CYCLE_1)
	v_mov_b32_e32 v8, s15
	global_wb scope:SCOPE_SYS
	s_wait_loadcnt 0x0
	s_wait_storecnt 0x0
	global_atomic_add_u64 v[6:7], v[8:9], off offset:8 scope:SCOPE_SYS
.LBB0_154:
	s_wait_xcnt 0x0
	s_or_b32 exec_lo, exec_lo, s14
	s_wait_loadcnt 0x0
	global_load_b64 v[8:9], v[6:7], off offset:16
	s_wait_loadcnt 0x0
	v_cmp_eq_u64_e32 vcc_lo, 0, v[8:9]
	s_cbranch_vccnz .LBB0_156
; %bb.155:
	global_load_b32 v6, v[6:7], off offset:24
	s_wait_xcnt 0x0
	v_mov_b32_e32 v7, 0
	s_wait_loadcnt 0x0
	v_readfirstlane_b32 s14, v6
	global_wb scope:SCOPE_SYS
	s_wait_storecnt 0x0
	global_store_b64 v[8:9], v[6:7], off scope:SCOPE_SYS
	s_and_b32 m0, s14, 0xffffff
	s_sendmsg sendmsg(MSG_INTERRUPT)
.LBB0_156:
	s_wait_xcnt 0x0
	s_or_b32 exec_lo, exec_lo, s9
	v_add_nc_u64_e32 v[6:7], v[14:15], v[4:5]
	s_branch .LBB0_160
.LBB0_157:                              ;   in Loop: Header=BB0_160 Depth=1
	s_wait_xcnt 0x0
	s_or_b32 exec_lo, exec_lo, s9
	s_delay_alu instid0(VALU_DEP_1)
	v_readfirstlane_b32 s9, v5
	s_cmp_eq_u32 s9, 0
	s_cbranch_scc1 .LBB0_159
; %bb.158:                              ;   in Loop: Header=BB0_160 Depth=1
	s_sleep 1
	s_cbranch_execnz .LBB0_160
	s_branch .LBB0_162
.LBB0_159:
	s_branch .LBB0_162
.LBB0_160:                              ; =>This Inner Loop Header: Depth=1
	v_mov_b32_e32 v5, 1
	s_and_saveexec_b32 s9, s3
	s_cbranch_execz .LBB0_157
; %bb.161:                              ;   in Loop: Header=BB0_160 Depth=1
	global_load_b32 v5, v[0:1], off offset:20 scope:SCOPE_SYS
	s_wait_loadcnt 0x0
	global_inv scope:SCOPE_SYS
	v_and_b32_e32 v5, 1, v5
	s_branch .LBB0_157
.LBB0_162:
	global_load_b64 v[6:7], v[6:7], off
	s_wait_xcnt 0x0
	s_and_saveexec_b32 s9, s3
	s_cbranch_execz .LBB0_166
; %bb.163:
	v_mov_b32_e32 v5, 0
	s_clause 0x2
	global_load_b64 v[0:1], v5, s[10:11] offset:40
	global_load_b64 v[12:13], v5, s[10:11] offset:24 scope:SCOPE_SYS
	global_load_b64 v[8:9], v5, s[10:11]
	s_wait_loadcnt 0x2
	v_readfirstlane_b32 s14, v0
	v_readfirstlane_b32 s15, v1
	s_add_nc_u64 s[16:17], s[14:15], 1
	s_delay_alu instid0(SALU_CYCLE_1) | instskip(NEXT) | instid1(SALU_CYCLE_1)
	s_add_nc_u64 s[12:13], s[16:17], s[12:13]
	s_cmp_eq_u64 s[12:13], 0
	s_cselect_b32 s13, s17, s13
	s_cselect_b32 s12, s16, s12
	v_mov_b32_e32 v11, s13
	s_and_b64 s[14:15], s[12:13], s[14:15]
	v_mov_b32_e32 v10, s12
	s_mul_u64 s[14:15], s[14:15], 24
	s_wait_loadcnt 0x0
	v_add_nc_u64_e32 v[0:1], s[14:15], v[8:9]
	global_store_b64 v[0:1], v[12:13], off
	global_wb scope:SCOPE_SYS
	s_wait_storecnt 0x0
	s_wait_xcnt 0x0
	global_atomic_cmpswap_b64 v[10:11], v5, v[10:13], s[10:11] offset:24 th:TH_ATOMIC_RETURN scope:SCOPE_SYS
	s_wait_loadcnt 0x0
	v_cmp_ne_u64_e32 vcc_lo, v[10:11], v[12:13]
	s_and_b32 exec_lo, exec_lo, vcc_lo
	s_cbranch_execz .LBB0_166
; %bb.164:
	s_mov_b32 s3, 0
.LBB0_165:                              ; =>This Inner Loop Header: Depth=1
	v_dual_mov_b32 v8, s12 :: v_dual_mov_b32 v9, s13
	s_sleep 1
	global_store_b64 v[0:1], v[10:11], off
	global_wb scope:SCOPE_SYS
	s_wait_storecnt 0x0
	s_wait_xcnt 0x0
	global_atomic_cmpswap_b64 v[8:9], v5, v[8:11], s[10:11] offset:24 th:TH_ATOMIC_RETURN scope:SCOPE_SYS
	s_wait_loadcnt 0x0
	v_cmp_eq_u64_e32 vcc_lo, v[8:9], v[10:11]
	v_mov_b64_e32 v[10:11], v[8:9]
	s_or_b32 s3, vcc_lo, s3
	s_delay_alu instid0(SALU_CYCLE_1)
	s_and_not1_b32 exec_lo, exec_lo, s3
	s_cbranch_execnz .LBB0_165
.LBB0_166:
	s_or_b32 exec_lo, exec_lo, s9
	v_readfirstlane_b32 s3, v3
	v_mov_b64_e32 v[0:1], 0
	s_delay_alu instid0(VALU_DEP_2)
	v_cmp_eq_u32_e64 s3, s3, v3
	s_and_saveexec_b32 s9, s3
	s_cbranch_execz .LBB0_172
; %bb.167:
	v_mov_b32_e32 v5, 0
	s_mov_b32 s12, exec_lo
	global_load_b64 v[10:11], v5, s[10:11] offset:24 scope:SCOPE_SYS
	s_wait_loadcnt 0x0
	global_inv scope:SCOPE_SYS
	s_clause 0x1
	global_load_b64 v[0:1], v5, s[10:11] offset:40
	global_load_b64 v[8:9], v5, s[10:11]
	s_wait_loadcnt 0x1
	v_and_b32_e32 v0, v0, v10
	v_and_b32_e32 v1, v1, v11
	s_delay_alu instid0(VALU_DEP_1) | instskip(SKIP_1) | instid1(VALU_DEP_1)
	v_mul_u64_e32 v[0:1], 24, v[0:1]
	s_wait_loadcnt 0x0
	v_add_nc_u64_e32 v[0:1], v[8:9], v[0:1]
	global_load_b64 v[8:9], v[0:1], off scope:SCOPE_SYS
	s_wait_xcnt 0x0
	s_wait_loadcnt 0x0
	global_atomic_cmpswap_b64 v[0:1], v5, v[8:11], s[10:11] offset:24 th:TH_ATOMIC_RETURN scope:SCOPE_SYS
	s_wait_loadcnt 0x0
	global_inv scope:SCOPE_SYS
	s_wait_xcnt 0x0
	v_cmpx_ne_u64_e64 v[0:1], v[10:11]
	s_cbranch_execz .LBB0_171
; %bb.168:
	s_mov_b32 s13, 0
.LBB0_169:                              ; =>This Inner Loop Header: Depth=1
	s_sleep 1
	s_clause 0x1
	global_load_b64 v[8:9], v5, s[10:11] offset:40
	global_load_b64 v[12:13], v5, s[10:11]
	v_mov_b64_e32 v[10:11], v[0:1]
	s_wait_loadcnt 0x1
	s_delay_alu instid0(VALU_DEP_1) | instskip(NEXT) | instid1(VALU_DEP_2)
	v_and_b32_e32 v0, v8, v10
	v_and_b32_e32 v8, v9, v11
	s_wait_loadcnt 0x0
	s_delay_alu instid0(VALU_DEP_2) | instskip(NEXT) | instid1(VALU_DEP_1)
	v_mad_nc_u64_u32 v[0:1], v0, 24, v[12:13]
	v_mad_u32 v1, v8, 24, v1
	global_load_b64 v[8:9], v[0:1], off scope:SCOPE_SYS
	s_wait_xcnt 0x0
	s_wait_loadcnt 0x0
	global_atomic_cmpswap_b64 v[0:1], v5, v[8:11], s[10:11] offset:24 th:TH_ATOMIC_RETURN scope:SCOPE_SYS
	s_wait_loadcnt 0x0
	global_inv scope:SCOPE_SYS
	v_cmp_eq_u64_e32 vcc_lo, v[0:1], v[10:11]
	s_or_b32 s13, vcc_lo, s13
	s_wait_xcnt 0x0
	s_and_not1_b32 exec_lo, exec_lo, s13
	s_cbranch_execnz .LBB0_169
; %bb.170:
	s_or_b32 exec_lo, exec_lo, s13
.LBB0_171:
	s_delay_alu instid0(SALU_CYCLE_1)
	s_or_b32 exec_lo, exec_lo, s12
.LBB0_172:
	s_delay_alu instid0(SALU_CYCLE_1)
	s_or_b32 exec_lo, exec_lo, s9
	v_readfirstlane_b32 s12, v0
	v_mov_b32_e32 v9, 0
	v_readfirstlane_b32 s13, v1
	s_mov_b32 s9, exec_lo
	s_clause 0x1
	global_load_b64 v[14:15], v9, s[10:11] offset:40
	global_load_b128 v[10:13], v9, s[10:11]
	s_wait_loadcnt 0x1
	v_and_b32_e32 v14, s12, v14
	v_and_b32_e32 v15, s13, v15
	s_delay_alu instid0(VALU_DEP_1) | instskip(SKIP_1) | instid1(VALU_DEP_1)
	v_mul_u64_e32 v[0:1], 24, v[14:15]
	s_wait_loadcnt 0x0
	v_add_nc_u64_e32 v[0:1], v[10:11], v[0:1]
	s_wait_xcnt 0x0
	s_and_saveexec_b32 s14, s3
	s_cbranch_execz .LBB0_174
; %bb.173:
	v_mov_b32_e32 v8, s9
	v_mov_b64_e32 v[18:19], 0x100000002
	s_delay_alu instid0(VALU_DEP_2)
	v_mov_b64_e32 v[16:17], v[8:9]
	global_store_b128 v[0:1], v[16:19], off offset:8
.LBB0_174:
	s_wait_xcnt 0x0
	s_or_b32 exec_lo, exec_lo, s14
	v_lshlrev_b64_e32 v[14:15], 12, v[14:15]
	s_mov_b32 s16, 0
	v_cndmask_b32_e64 v8, -1, v36, s2
	s_mov_b32 s17, s16
	s_mov_b32 s18, s16
	;; [unrolled: 1-line block ×3, first 2 shown]
	v_and_or_b32 v6, 0xffffff1d, v6, 34
	v_add_nc_u64_e32 v[12:13], v[12:13], v[14:15]
	s_delay_alu instid0(VALU_DEP_1) | instskip(NEXT) | instid1(VALU_DEP_2)
	v_readfirstlane_b32 s14, v12
	v_readfirstlane_b32 s15, v13
	v_mov_b64_e32 v[12:13], s[16:17]
	v_mov_b64_e32 v[14:15], s[18:19]
	s_clause 0x3
	global_store_b128 v4, v[6:9], s[14:15]
	global_store_b128 v4, v[12:15], s[14:15] offset:16
	global_store_b128 v4, v[12:15], s[14:15] offset:32
	;; [unrolled: 1-line block ×3, first 2 shown]
	s_wait_xcnt 0x0
	s_and_saveexec_b32 s2, s3
	s_cbranch_execz .LBB0_182
; %bb.175:
	v_dual_mov_b32 v5, 0 :: v_dual_mov_b32 v13, s13
	s_mov_b32 s9, exec_lo
	s_clause 0x1
	global_load_b64 v[14:15], v5, s[10:11] offset:32 scope:SCOPE_SYS
	global_load_b64 v[6:7], v5, s[10:11] offset:40
	s_wait_loadcnt 0x0
	v_dual_mov_b32 v12, s12 :: v_dual_bitop2_b32 v7, s13, v7 bitop3:0x40
	v_and_b32_e32 v6, s12, v6
	s_delay_alu instid0(VALU_DEP_1) | instskip(NEXT) | instid1(VALU_DEP_1)
	v_mul_u64_e32 v[6:7], 24, v[6:7]
	v_add_nc_u64_e32 v[10:11], v[10:11], v[6:7]
	global_store_b64 v[10:11], v[14:15], off
	global_wb scope:SCOPE_SYS
	s_wait_storecnt 0x0
	s_wait_xcnt 0x0
	global_atomic_cmpswap_b64 v[8:9], v5, v[12:15], s[10:11] offset:32 th:TH_ATOMIC_RETURN scope:SCOPE_SYS
	s_wait_loadcnt 0x0
	v_cmpx_ne_u64_e64 v[8:9], v[14:15]
	s_cbranch_execz .LBB0_178
; %bb.176:
	s_mov_b32 s14, 0
.LBB0_177:                              ; =>This Inner Loop Header: Depth=1
	v_dual_mov_b32 v6, s12 :: v_dual_mov_b32 v7, s13
	s_sleep 1
	global_store_b64 v[10:11], v[8:9], off
	global_wb scope:SCOPE_SYS
	s_wait_storecnt 0x0
	s_wait_xcnt 0x0
	global_atomic_cmpswap_b64 v[6:7], v5, v[6:9], s[10:11] offset:32 th:TH_ATOMIC_RETURN scope:SCOPE_SYS
	s_wait_loadcnt 0x0
	v_cmp_eq_u64_e32 vcc_lo, v[6:7], v[8:9]
	v_mov_b64_e32 v[8:9], v[6:7]
	s_or_b32 s14, vcc_lo, s14
	s_delay_alu instid0(SALU_CYCLE_1)
	s_and_not1_b32 exec_lo, exec_lo, s14
	s_cbranch_execnz .LBB0_177
.LBB0_178:
	s_or_b32 exec_lo, exec_lo, s9
	v_mov_b32_e32 v9, 0
	s_mov_b32 s14, exec_lo
	s_mov_b32 s9, exec_lo
	v_mbcnt_lo_u32_b32 v5, s14, 0
	global_load_b64 v[6:7], v9, s[10:11] offset:16
	s_wait_xcnt 0x0
	v_cmpx_eq_u32_e32 0, v5
	s_cbranch_execz .LBB0_180
; %bb.179:
	s_bcnt1_i32_b32 s14, s14
	s_delay_alu instid0(SALU_CYCLE_1)
	v_mov_b32_e32 v8, s14
	global_wb scope:SCOPE_SYS
	s_wait_loadcnt 0x0
	s_wait_storecnt 0x0
	global_atomic_add_u64 v[6:7], v[8:9], off offset:8 scope:SCOPE_SYS
.LBB0_180:
	s_wait_xcnt 0x0
	s_or_b32 exec_lo, exec_lo, s9
	s_wait_loadcnt 0x0
	global_load_b64 v[8:9], v[6:7], off offset:16
	s_wait_loadcnt 0x0
	v_cmp_eq_u64_e32 vcc_lo, 0, v[8:9]
	s_cbranch_vccnz .LBB0_182
; %bb.181:
	global_load_b32 v6, v[6:7], off offset:24
	s_wait_xcnt 0x0
	v_mov_b32_e32 v7, 0
	s_wait_loadcnt 0x0
	v_readfirstlane_b32 s9, v6
	global_wb scope:SCOPE_SYS
	s_wait_storecnt 0x0
	global_store_b64 v[8:9], v[6:7], off scope:SCOPE_SYS
	s_and_b32 m0, s9, 0xffffff
	s_sendmsg sendmsg(MSG_INTERRUPT)
.LBB0_182:
	s_wait_xcnt 0x0
	s_or_b32 exec_lo, exec_lo, s2
	s_branch .LBB0_186
.LBB0_183:                              ;   in Loop: Header=BB0_186 Depth=1
	s_wait_xcnt 0x0
	s_or_b32 exec_lo, exec_lo, s2
	s_delay_alu instid0(VALU_DEP_1)
	v_readfirstlane_b32 s2, v5
	s_cmp_eq_u32 s2, 0
	s_cbranch_scc1 .LBB0_185
; %bb.184:                              ;   in Loop: Header=BB0_186 Depth=1
	s_sleep 1
	s_cbranch_execnz .LBB0_186
	s_branch .LBB0_188
.LBB0_185:
	s_branch .LBB0_188
.LBB0_186:                              ; =>This Inner Loop Header: Depth=1
	v_mov_b32_e32 v5, 1
	s_and_saveexec_b32 s2, s3
	s_cbranch_execz .LBB0_183
; %bb.187:                              ;   in Loop: Header=BB0_186 Depth=1
	global_load_b32 v5, v[0:1], off offset:20 scope:SCOPE_SYS
	s_wait_loadcnt 0x0
	global_inv scope:SCOPE_SYS
	v_and_b32_e32 v5, 1, v5
	s_branch .LBB0_183
.LBB0_188:
	s_and_saveexec_b32 s9, s3
	s_cbranch_execz .LBB0_192
; %bb.189:
	v_mov_b32_e32 v5, 0
	s_clause 0x2
	global_load_b64 v[0:1], v5, s[10:11] offset:40
	global_load_b64 v[10:11], v5, s[10:11] offset:24 scope:SCOPE_SYS
	global_load_b64 v[6:7], v5, s[10:11]
	s_wait_loadcnt 0x2
	v_readfirstlane_b32 s14, v0
	v_readfirstlane_b32 s15, v1
	s_add_nc_u64 s[2:3], s[14:15], 1
	s_delay_alu instid0(SALU_CYCLE_1) | instskip(NEXT) | instid1(SALU_CYCLE_1)
	s_add_nc_u64 s[12:13], s[2:3], s[12:13]
	s_cmp_eq_u64 s[12:13], 0
	s_cselect_b32 s3, s3, s13
	s_cselect_b32 s2, s2, s12
	v_mov_b32_e32 v9, s3
	s_and_b64 s[12:13], s[2:3], s[14:15]
	v_mov_b32_e32 v8, s2
	s_mul_u64 s[12:13], s[12:13], 24
	s_wait_loadcnt 0x0
	v_add_nc_u64_e32 v[0:1], s[12:13], v[6:7]
	global_store_b64 v[0:1], v[10:11], off
	global_wb scope:SCOPE_SYS
	s_wait_storecnt 0x0
	s_wait_xcnt 0x0
	global_atomic_cmpswap_b64 v[8:9], v5, v[8:11], s[10:11] offset:24 th:TH_ATOMIC_RETURN scope:SCOPE_SYS
	s_wait_loadcnt 0x0
	v_cmp_ne_u64_e32 vcc_lo, v[8:9], v[10:11]
	s_and_b32 exec_lo, exec_lo, vcc_lo
	s_cbranch_execz .LBB0_192
; %bb.190:
	s_mov_b32 s12, 0
.LBB0_191:                              ; =>This Inner Loop Header: Depth=1
	v_dual_mov_b32 v6, s2 :: v_dual_mov_b32 v7, s3
	s_sleep 1
	global_store_b64 v[0:1], v[8:9], off
	global_wb scope:SCOPE_SYS
	s_wait_storecnt 0x0
	s_wait_xcnt 0x0
	global_atomic_cmpswap_b64 v[6:7], v5, v[6:9], s[10:11] offset:24 th:TH_ATOMIC_RETURN scope:SCOPE_SYS
	s_wait_loadcnt 0x0
	v_cmp_eq_u64_e32 vcc_lo, v[6:7], v[8:9]
	v_mov_b64_e32 v[8:9], v[6:7]
	s_or_b32 s12, vcc_lo, s12
	s_delay_alu instid0(SALU_CYCLE_1)
	s_and_not1_b32 exec_lo, exec_lo, s12
	s_cbranch_execnz .LBB0_191
.LBB0_192:
	s_or_b32 exec_lo, exec_lo, s9
	s_cvt_f32_u32 s2, s24
	v_readfirstlane_b32 s9, v3
	s_sub_co_i32 s12, 0, s24
	s_delay_alu instid0(SALU_CYCLE_1) | instskip(SKIP_1) | instid1(TRANS32_DEP_1)
	v_rcp_iflag_f32_e32 v0, s2
	v_nop
	v_readfirstlane_b32 s2, v0
	v_mov_b64_e32 v[0:1], 0
	s_mul_f32 s2, s2, 0x4f7ffffe
	s_delay_alu instid0(SALU_CYCLE_3) | instskip(SKIP_2) | instid1(SALU_CYCLE_1)
	s_cvt_u32_f32 s3, s2
	v_cmp_eq_u32_e64 s2, s9, v3
	s_mov_b32 s9, 0
	s_mul_i32 s12, s12, s3
	s_delay_alu instid0(SALU_CYCLE_1)
	s_mul_hi_u32 s12, s3, s12
	s_and_saveexec_b32 s13, s2
	s_cbranch_execz .LBB0_198
; %bb.193:
	v_mov_b32_e32 v5, 0
	s_mov_b32 s14, exec_lo
	global_load_b64 v[8:9], v5, s[10:11] offset:24 scope:SCOPE_SYS
	s_wait_loadcnt 0x0
	global_inv scope:SCOPE_SYS
	s_clause 0x1
	global_load_b64 v[0:1], v5, s[10:11] offset:40
	global_load_b64 v[6:7], v5, s[10:11]
	s_wait_loadcnt 0x1
	v_and_b32_e32 v0, v0, v8
	v_and_b32_e32 v1, v1, v9
	s_delay_alu instid0(VALU_DEP_1) | instskip(SKIP_1) | instid1(VALU_DEP_1)
	v_mul_u64_e32 v[0:1], 24, v[0:1]
	s_wait_loadcnt 0x0
	v_add_nc_u64_e32 v[0:1], v[6:7], v[0:1]
	global_load_b64 v[6:7], v[0:1], off scope:SCOPE_SYS
	s_wait_xcnt 0x0
	s_wait_loadcnt 0x0
	global_atomic_cmpswap_b64 v[0:1], v5, v[6:9], s[10:11] offset:24 th:TH_ATOMIC_RETURN scope:SCOPE_SYS
	s_wait_loadcnt 0x0
	global_inv scope:SCOPE_SYS
	s_wait_xcnt 0x0
	v_cmpx_ne_u64_e64 v[0:1], v[8:9]
	s_cbranch_execz .LBB0_197
; %bb.194:
	s_mov_b32 s15, 0
.LBB0_195:                              ; =>This Inner Loop Header: Depth=1
	s_sleep 1
	s_clause 0x1
	global_load_b64 v[6:7], v5, s[10:11] offset:40
	global_load_b64 v[10:11], v5, s[10:11]
	v_mov_b64_e32 v[8:9], v[0:1]
	s_wait_loadcnt 0x1
	s_delay_alu instid0(VALU_DEP_1) | instskip(NEXT) | instid1(VALU_DEP_2)
	v_and_b32_e32 v0, v6, v8
	v_and_b32_e32 v6, v7, v9
	s_wait_loadcnt 0x0
	s_delay_alu instid0(VALU_DEP_2) | instskip(NEXT) | instid1(VALU_DEP_1)
	v_mad_nc_u64_u32 v[0:1], v0, 24, v[10:11]
	v_mad_u32 v1, v6, 24, v1
	global_load_b64 v[6:7], v[0:1], off scope:SCOPE_SYS
	s_wait_xcnt 0x0
	s_wait_loadcnt 0x0
	global_atomic_cmpswap_b64 v[0:1], v5, v[6:9], s[10:11] offset:24 th:TH_ATOMIC_RETURN scope:SCOPE_SYS
	s_wait_loadcnt 0x0
	global_inv scope:SCOPE_SYS
	v_cmp_eq_u64_e32 vcc_lo, v[0:1], v[8:9]
	s_or_b32 s15, vcc_lo, s15
	s_wait_xcnt 0x0
	s_and_not1_b32 exec_lo, exec_lo, s15
	s_cbranch_execnz .LBB0_195
; %bb.196:
	s_or_b32 exec_lo, exec_lo, s15
.LBB0_197:
	s_delay_alu instid0(SALU_CYCLE_1)
	s_or_b32 exec_lo, exec_lo, s14
.LBB0_198:
	s_delay_alu instid0(SALU_CYCLE_1)
	s_or_b32 exec_lo, exec_lo, s13
	v_readfirstlane_b32 s14, v0
	v_mov_b32_e32 v5, 0
	v_readfirstlane_b32 s15, v1
	s_mov_b32 s13, exec_lo
	s_add_co_i32 s12, s3, s12
	s_clause 0x1
	global_load_b64 v[10:11], v5, s[10:11] offset:40
	global_load_b128 v[6:9], v5, s[10:11]
	s_wait_loadcnt 0x1
	v_and_b32_e32 v10, s14, v10
	v_and_b32_e32 v11, s15, v11
	s_delay_alu instid0(VALU_DEP_1) | instskip(SKIP_1) | instid1(VALU_DEP_1)
	v_mul_u64_e32 v[0:1], 24, v[10:11]
	s_wait_loadcnt 0x0
	v_add_nc_u64_e32 v[0:1], v[6:7], v[0:1]
	s_wait_xcnt 0x0
	s_and_saveexec_b32 s3, s2
	s_cbranch_execz .LBB0_200
; %bb.199:
	v_mov_b64_e32 v[14:15], 0x100000002
	v_dual_mov_b32 v12, s13 :: v_dual_mov_b32 v13, v5
	global_store_b128 v[0:1], v[12:15], off offset:8
.LBB0_200:
	s_wait_xcnt 0x0
	s_or_b32 exec_lo, exec_lo, s3
	v_lshlrev_b64_e32 v[10:11], 12, v[10:11]
	s_mov_b32 s16, 0
	v_dual_mov_b32 v12, 33 :: v_dual_mov_b32 v13, v5
	s_mov_b32 s17, s16
	s_mov_b32 s18, s16
	;; [unrolled: 1-line block ×3, first 2 shown]
	s_delay_alu instid0(VALU_DEP_2) | instskip(SKIP_4) | instid1(VALU_DEP_4)
	v_add_nc_u64_e32 v[10:11], v[8:9], v[10:11]
	v_mov_b64_e32 v[16:17], s[16:17]
	v_mov_b64_e32 v[18:19], s[18:19]
	v_dual_mov_b32 v14, v5 :: v_dual_mov_b32 v15, v5
	s_mov_b32 s13, s9
	v_readfirstlane_b32 s20, v10
	v_readfirstlane_b32 s21, v11
	s_clause 0x3
	global_store_b128 v4, v[12:15], s[20:21]
	global_store_b128 v4, v[16:19], s[20:21] offset:16
	global_store_b128 v4, v[16:19], s[20:21] offset:32
	;; [unrolled: 1-line block ×3, first 2 shown]
	s_wait_xcnt 0x0
	s_and_saveexec_b32 s3, s2
	s_cbranch_execz .LBB0_208
; %bb.201:
	v_dual_mov_b32 v14, 0 :: v_dual_mov_b32 v17, s15
	s_mov_b32 s16, exec_lo
	s_clause 0x1
	global_load_b64 v[18:19], v14, s[10:11] offset:32 scope:SCOPE_SYS
	global_load_b64 v[8:9], v14, s[10:11] offset:40
	s_wait_loadcnt 0x0
	v_dual_mov_b32 v16, s14 :: v_dual_bitop2_b32 v9, s15, v9 bitop3:0x40
	v_and_b32_e32 v8, s14, v8
	s_delay_alu instid0(VALU_DEP_1) | instskip(NEXT) | instid1(VALU_DEP_1)
	v_mul_u64_e32 v[8:9], 24, v[8:9]
	v_add_nc_u64_e32 v[12:13], v[6:7], v[8:9]
	global_store_b64 v[12:13], v[18:19], off
	global_wb scope:SCOPE_SYS
	s_wait_storecnt 0x0
	s_wait_xcnt 0x0
	global_atomic_cmpswap_b64 v[8:9], v14, v[16:19], s[10:11] offset:32 th:TH_ATOMIC_RETURN scope:SCOPE_SYS
	s_wait_loadcnt 0x0
	v_cmpx_ne_u64_e64 v[8:9], v[18:19]
	s_cbranch_execz .LBB0_204
; %bb.202:
	s_mov_b32 s17, 0
.LBB0_203:                              ; =>This Inner Loop Header: Depth=1
	v_dual_mov_b32 v6, s14 :: v_dual_mov_b32 v7, s15
	s_sleep 1
	global_store_b64 v[12:13], v[8:9], off
	global_wb scope:SCOPE_SYS
	s_wait_storecnt 0x0
	s_wait_xcnt 0x0
	global_atomic_cmpswap_b64 v[6:7], v14, v[6:9], s[10:11] offset:32 th:TH_ATOMIC_RETURN scope:SCOPE_SYS
	s_wait_loadcnt 0x0
	v_cmp_eq_u64_e32 vcc_lo, v[6:7], v[8:9]
	v_mov_b64_e32 v[8:9], v[6:7]
	s_or_b32 s17, vcc_lo, s17
	s_delay_alu instid0(SALU_CYCLE_1)
	s_and_not1_b32 exec_lo, exec_lo, s17
	s_cbranch_execnz .LBB0_203
.LBB0_204:
	s_or_b32 exec_lo, exec_lo, s16
	v_mov_b32_e32 v9, 0
	s_mov_b32 s17, exec_lo
	s_mov_b32 s16, exec_lo
	v_mbcnt_lo_u32_b32 v8, s17, 0
	global_load_b64 v[6:7], v9, s[10:11] offset:16
	s_wait_xcnt 0x0
	v_cmpx_eq_u32_e32 0, v8
	s_cbranch_execz .LBB0_206
; %bb.205:
	s_bcnt1_i32_b32 s17, s17
	s_delay_alu instid0(SALU_CYCLE_1)
	v_mov_b32_e32 v8, s17
	global_wb scope:SCOPE_SYS
	s_wait_loadcnt 0x0
	s_wait_storecnt 0x0
	global_atomic_add_u64 v[6:7], v[8:9], off offset:8 scope:SCOPE_SYS
.LBB0_206:
	s_wait_xcnt 0x0
	s_or_b32 exec_lo, exec_lo, s16
	s_wait_loadcnt 0x0
	global_load_b64 v[8:9], v[6:7], off offset:16
	s_wait_loadcnt 0x0
	v_cmp_eq_u64_e32 vcc_lo, 0, v[8:9]
	s_cbranch_vccnz .LBB0_208
; %bb.207:
	global_load_b32 v6, v[6:7], off offset:24
	s_wait_xcnt 0x0
	v_mov_b32_e32 v7, 0
	s_wait_loadcnt 0x0
	v_readfirstlane_b32 s16, v6
	global_wb scope:SCOPE_SYS
	s_wait_storecnt 0x0
	global_store_b64 v[8:9], v[6:7], off scope:SCOPE_SYS
	s_and_b32 m0, s16, 0xffffff
	s_sendmsg sendmsg(MSG_INTERRUPT)
.LBB0_208:
	s_wait_xcnt 0x0
	s_or_b32 exec_lo, exec_lo, s3
	v_add_nc_u64_e32 v[6:7], v[10:11], v[4:5]
	s_mul_u64 s[12:13], s[8:9], s[12:13]
	s_branch .LBB0_212
.LBB0_209:                              ;   in Loop: Header=BB0_212 Depth=1
	s_wait_xcnt 0x0
	s_or_b32 exec_lo, exec_lo, s3
	s_delay_alu instid0(VALU_DEP_1)
	v_readfirstlane_b32 s3, v5
	s_cmp_eq_u32 s3, 0
	s_cbranch_scc1 .LBB0_211
; %bb.210:                              ;   in Loop: Header=BB0_212 Depth=1
	s_sleep 1
	s_cbranch_execnz .LBB0_212
	s_branch .LBB0_214
.LBB0_211:
	s_branch .LBB0_214
.LBB0_212:                              ; =>This Inner Loop Header: Depth=1
	v_mov_b32_e32 v5, 1
	s_and_saveexec_b32 s3, s2
	s_cbranch_execz .LBB0_209
; %bb.213:                              ;   in Loop: Header=BB0_212 Depth=1
	global_load_b32 v5, v[0:1], off offset:20 scope:SCOPE_SYS
	s_wait_loadcnt 0x0
	global_inv scope:SCOPE_SYS
	v_and_b32_e32 v5, 1, v5
	s_branch .LBB0_209
.LBB0_214:
	global_load_b64 v[6:7], v[6:7], off
	s_wait_xcnt 0x0
	s_and_saveexec_b32 s9, s2
	s_cbranch_execz .LBB0_218
; %bb.215:
	v_mov_b32_e32 v5, 0
	s_clause 0x2
	global_load_b64 v[0:1], v5, s[10:11] offset:40
	global_load_b64 v[12:13], v5, s[10:11] offset:24 scope:SCOPE_SYS
	global_load_b64 v[8:9], v5, s[10:11]
	s_wait_loadcnt 0x2
	v_readfirstlane_b32 s16, v0
	v_readfirstlane_b32 s17, v1
	s_add_nc_u64 s[2:3], s[16:17], 1
	s_delay_alu instid0(SALU_CYCLE_1) | instskip(NEXT) | instid1(SALU_CYCLE_1)
	s_add_nc_u64 s[14:15], s[2:3], s[14:15]
	s_cmp_eq_u64 s[14:15], 0
	s_cselect_b32 s3, s3, s15
	s_cselect_b32 s2, s2, s14
	v_mov_b32_e32 v11, s3
	s_and_b64 s[14:15], s[2:3], s[16:17]
	v_mov_b32_e32 v10, s2
	s_mul_u64 s[14:15], s[14:15], 24
	s_wait_loadcnt 0x0
	v_add_nc_u64_e32 v[0:1], s[14:15], v[8:9]
	global_store_b64 v[0:1], v[12:13], off
	global_wb scope:SCOPE_SYS
	s_wait_storecnt 0x0
	s_wait_xcnt 0x0
	global_atomic_cmpswap_b64 v[10:11], v5, v[10:13], s[10:11] offset:24 th:TH_ATOMIC_RETURN scope:SCOPE_SYS
	s_wait_loadcnt 0x0
	v_cmp_ne_u64_e32 vcc_lo, v[10:11], v[12:13]
	s_and_b32 exec_lo, exec_lo, vcc_lo
	s_cbranch_execz .LBB0_218
; %bb.216:
	s_mov_b32 s12, 0
.LBB0_217:                              ; =>This Inner Loop Header: Depth=1
	v_dual_mov_b32 v8, s2 :: v_dual_mov_b32 v9, s3
	s_sleep 1
	global_store_b64 v[0:1], v[10:11], off
	global_wb scope:SCOPE_SYS
	s_wait_storecnt 0x0
	s_wait_xcnt 0x0
	global_atomic_cmpswap_b64 v[8:9], v5, v[8:11], s[10:11] offset:24 th:TH_ATOMIC_RETURN scope:SCOPE_SYS
	s_wait_loadcnt 0x0
	v_cmp_eq_u64_e32 vcc_lo, v[8:9], v[10:11]
	v_mov_b64_e32 v[10:11], v[8:9]
	s_or_b32 s12, vcc_lo, s12
	s_delay_alu instid0(SALU_CYCLE_1)
	s_and_not1_b32 exec_lo, exec_lo, s12
	s_cbranch_execnz .LBB0_217
.LBB0_218:
	s_or_b32 exec_lo, exec_lo, s9
	s_get_pc_i64 s[14:15]
	s_add_nc_u64 s[14:15], s[14:15], .str.1@rel64+4
	s_delay_alu instid0(SALU_CYCLE_1)
	s_cmp_lg_u64 s[14:15], 0
	s_cbranch_scc0 .LBB0_297
; %bb.219:
	v_mov_b64_e32 v[14:15], 0x100000002
	s_wait_loadcnt 0x0
	v_dual_mov_b32 v13, 0 :: v_dual_bitop2_b32 v0, 2, v6 bitop3:0x40
	v_dual_mov_b32 v9, v7 :: v_dual_bitop2_b32 v8, -3, v6 bitop3:0x40
	s_mov_b64 s[16:17], 48
	s_branch .LBB0_221
.LBB0_220:                              ;   in Loop: Header=BB0_221 Depth=1
	s_or_b32 exec_lo, exec_lo, s9
	s_sub_nc_u64 s[16:17], s[16:17], s[18:19]
	s_add_nc_u64 s[14:15], s[14:15], s[18:19]
	s_cmp_lg_u64 s[16:17], 0
	s_cbranch_scc0 .LBB0_296
.LBB0_221:                              ; =>This Loop Header: Depth=1
                                        ;     Child Loop BB0_224 Depth 2
                                        ;     Child Loop BB0_231 Depth 2
	;; [unrolled: 1-line block ×11, first 2 shown]
	v_min_u64 v[10:11], s[16:17], 56
	v_cmp_gt_u64_e64 s2, s[16:17], 7
	s_and_b32 vcc_lo, exec_lo, s2
	v_readfirstlane_b32 s18, v10
	v_readfirstlane_b32 s19, v11
	s_cbranch_vccnz .LBB0_226
; %bb.222:                              ;   in Loop: Header=BB0_221 Depth=1
	v_mov_b64_e32 v[10:11], 0
	s_cmp_eq_u64 s[16:17], 0
	s_cbranch_scc1 .LBB0_225
; %bb.223:                              ;   in Loop: Header=BB0_221 Depth=1
	s_mov_b64 s[2:3], 0
	s_mov_b64 s[20:21], 0
.LBB0_224:                              ;   Parent Loop BB0_221 Depth=1
                                        ; =>  This Inner Loop Header: Depth=2
	s_wait_xcnt 0x0
	s_add_nc_u64 s[22:23], s[14:15], s[20:21]
	s_add_nc_u64 s[20:21], s[20:21], 1
	global_load_u8 v1, v13, s[22:23]
	s_cmp_lg_u32 s18, s20
	s_wait_loadcnt 0x0
	v_and_b32_e32 v12, 0xffff, v1
	s_delay_alu instid0(VALU_DEP_1) | instskip(SKIP_1) | instid1(VALU_DEP_1)
	v_lshlrev_b64_e32 v[16:17], s2, v[12:13]
	s_add_nc_u64 s[2:3], s[2:3], 8
	v_or_b32_e32 v10, v16, v10
	s_delay_alu instid0(VALU_DEP_2)
	v_or_b32_e32 v11, v17, v11
	s_cbranch_scc1 .LBB0_224
.LBB0_225:                              ;   in Loop: Header=BB0_221 Depth=1
	s_mov_b64 s[20:21], s[14:15]
	s_mov_b32 s9, 0
	s_cbranch_execz .LBB0_227
	s_branch .LBB0_228
.LBB0_226:                              ;   in Loop: Header=BB0_221 Depth=1
	s_add_nc_u64 s[20:21], s[14:15], 8
	s_mov_b32 s9, 0
.LBB0_227:                              ;   in Loop: Header=BB0_221 Depth=1
	global_load_b64 v[10:11], v13, s[14:15]
	s_add_co_i32 s9, s18, -8
.LBB0_228:                              ;   in Loop: Header=BB0_221 Depth=1
	s_delay_alu instid0(SALU_CYCLE_1)
	s_cmp_gt_u32 s9, 7
	s_cbranch_scc1 .LBB0_233
; %bb.229:                              ;   in Loop: Header=BB0_221 Depth=1
	v_mov_b64_e32 v[16:17], 0
	s_cmp_eq_u32 s9, 0
	s_cbranch_scc1 .LBB0_232
; %bb.230:                              ;   in Loop: Header=BB0_221 Depth=1
	s_mov_b64 s[2:3], 0
	s_wait_xcnt 0x0
	s_mov_b64 s[22:23], 0
.LBB0_231:                              ;   Parent Loop BB0_221 Depth=1
                                        ; =>  This Inner Loop Header: Depth=2
	s_wait_xcnt 0x0
	s_add_nc_u64 s[26:27], s[20:21], s[22:23]
	s_add_nc_u64 s[22:23], s[22:23], 1
	global_load_u8 v1, v13, s[26:27]
	s_cmp_lg_u32 s9, s22
	s_wait_loadcnt 0x0
	v_and_b32_e32 v12, 0xffff, v1
	s_delay_alu instid0(VALU_DEP_1) | instskip(SKIP_1) | instid1(VALU_DEP_1)
	v_lshlrev_b64_e32 v[18:19], s2, v[12:13]
	s_add_nc_u64 s[2:3], s[2:3], 8
	v_or_b32_e32 v16, v18, v16
	s_delay_alu instid0(VALU_DEP_2)
	v_or_b32_e32 v17, v19, v17
	s_cbranch_scc1 .LBB0_231
.LBB0_232:                              ;   in Loop: Header=BB0_221 Depth=1
	s_mov_b64 s[2:3], s[20:21]
	s_mov_b32 s12, 0
	s_cbranch_execz .LBB0_234
	s_branch .LBB0_235
.LBB0_233:                              ;   in Loop: Header=BB0_221 Depth=1
	s_add_nc_u64 s[2:3], s[20:21], 8
                                        ; implicit-def: $vgpr16_vgpr17
	s_mov_b32 s12, 0
.LBB0_234:                              ;   in Loop: Header=BB0_221 Depth=1
	global_load_b64 v[16:17], v13, s[20:21]
	s_add_co_i32 s12, s9, -8
.LBB0_235:                              ;   in Loop: Header=BB0_221 Depth=1
	s_delay_alu instid0(SALU_CYCLE_1)
	s_cmp_gt_u32 s12, 7
	s_cbranch_scc1 .LBB0_240
; %bb.236:                              ;   in Loop: Header=BB0_221 Depth=1
	v_mov_b64_e32 v[18:19], 0
	s_cmp_eq_u32 s12, 0
	s_cbranch_scc1 .LBB0_239
; %bb.237:                              ;   in Loop: Header=BB0_221 Depth=1
	s_wait_xcnt 0x0
	s_mov_b64 s[20:21], 0
	s_mov_b64 s[22:23], 0
.LBB0_238:                              ;   Parent Loop BB0_221 Depth=1
                                        ; =>  This Inner Loop Header: Depth=2
	s_wait_xcnt 0x0
	s_add_nc_u64 s[26:27], s[2:3], s[22:23]
	s_add_nc_u64 s[22:23], s[22:23], 1
	global_load_u8 v1, v13, s[26:27]
	s_cmp_lg_u32 s12, s22
	s_wait_loadcnt 0x0
	v_and_b32_e32 v12, 0xffff, v1
	s_delay_alu instid0(VALU_DEP_1) | instskip(SKIP_1) | instid1(VALU_DEP_1)
	v_lshlrev_b64_e32 v[20:21], s20, v[12:13]
	s_add_nc_u64 s[20:21], s[20:21], 8
	v_or_b32_e32 v18, v20, v18
	s_delay_alu instid0(VALU_DEP_2)
	v_or_b32_e32 v19, v21, v19
	s_cbranch_scc1 .LBB0_238
.LBB0_239:                              ;   in Loop: Header=BB0_221 Depth=1
	s_wait_xcnt 0x0
	s_mov_b64 s[20:21], s[2:3]
	s_mov_b32 s9, 0
	s_cbranch_execz .LBB0_241
	s_branch .LBB0_242
.LBB0_240:                              ;   in Loop: Header=BB0_221 Depth=1
	s_wait_xcnt 0x0
	s_add_nc_u64 s[20:21], s[2:3], 8
	s_mov_b32 s9, 0
.LBB0_241:                              ;   in Loop: Header=BB0_221 Depth=1
	global_load_b64 v[18:19], v13, s[2:3]
	s_add_co_i32 s9, s12, -8
.LBB0_242:                              ;   in Loop: Header=BB0_221 Depth=1
	s_delay_alu instid0(SALU_CYCLE_1)
	s_cmp_gt_u32 s9, 7
	s_cbranch_scc1 .LBB0_247
; %bb.243:                              ;   in Loop: Header=BB0_221 Depth=1
	v_mov_b64_e32 v[20:21], 0
	s_cmp_eq_u32 s9, 0
	s_cbranch_scc1 .LBB0_246
; %bb.244:                              ;   in Loop: Header=BB0_221 Depth=1
	s_wait_xcnt 0x0
	s_mov_b64 s[2:3], 0
	s_mov_b64 s[22:23], 0
.LBB0_245:                              ;   Parent Loop BB0_221 Depth=1
                                        ; =>  This Inner Loop Header: Depth=2
	s_wait_xcnt 0x0
	s_add_nc_u64 s[26:27], s[20:21], s[22:23]
	s_add_nc_u64 s[22:23], s[22:23], 1
	global_load_u8 v1, v13, s[26:27]
	s_cmp_lg_u32 s9, s22
	s_wait_loadcnt 0x0
	v_and_b32_e32 v12, 0xffff, v1
	s_delay_alu instid0(VALU_DEP_1) | instskip(SKIP_1) | instid1(VALU_DEP_1)
	v_lshlrev_b64_e32 v[22:23], s2, v[12:13]
	s_add_nc_u64 s[2:3], s[2:3], 8
	v_or_b32_e32 v20, v22, v20
	s_delay_alu instid0(VALU_DEP_2)
	v_or_b32_e32 v21, v23, v21
	s_cbranch_scc1 .LBB0_245
.LBB0_246:                              ;   in Loop: Header=BB0_221 Depth=1
	s_wait_xcnt 0x0
	s_mov_b64 s[2:3], s[20:21]
	s_mov_b32 s12, 0
	s_cbranch_execz .LBB0_248
	s_branch .LBB0_249
.LBB0_247:                              ;   in Loop: Header=BB0_221 Depth=1
	s_wait_xcnt 0x0
	s_add_nc_u64 s[2:3], s[20:21], 8
                                        ; implicit-def: $vgpr20_vgpr21
	s_mov_b32 s12, 0
.LBB0_248:                              ;   in Loop: Header=BB0_221 Depth=1
	global_load_b64 v[20:21], v13, s[20:21]
	s_add_co_i32 s12, s9, -8
.LBB0_249:                              ;   in Loop: Header=BB0_221 Depth=1
	s_delay_alu instid0(SALU_CYCLE_1)
	s_cmp_gt_u32 s12, 7
	s_cbranch_scc1 .LBB0_254
; %bb.250:                              ;   in Loop: Header=BB0_221 Depth=1
	v_mov_b64_e32 v[22:23], 0
	s_cmp_eq_u32 s12, 0
	s_cbranch_scc1 .LBB0_253
; %bb.251:                              ;   in Loop: Header=BB0_221 Depth=1
	s_wait_xcnt 0x0
	s_mov_b64 s[20:21], 0
	s_mov_b64 s[22:23], 0
.LBB0_252:                              ;   Parent Loop BB0_221 Depth=1
                                        ; =>  This Inner Loop Header: Depth=2
	s_wait_xcnt 0x0
	s_add_nc_u64 s[26:27], s[2:3], s[22:23]
	s_add_nc_u64 s[22:23], s[22:23], 1
	global_load_u8 v1, v13, s[26:27]
	s_cmp_lg_u32 s12, s22
	s_wait_loadcnt 0x0
	v_and_b32_e32 v12, 0xffff, v1
	s_delay_alu instid0(VALU_DEP_1) | instskip(SKIP_1) | instid1(VALU_DEP_1)
	v_lshlrev_b64_e32 v[24:25], s20, v[12:13]
	s_add_nc_u64 s[20:21], s[20:21], 8
	v_or_b32_e32 v22, v24, v22
	s_delay_alu instid0(VALU_DEP_2)
	v_or_b32_e32 v23, v25, v23
	s_cbranch_scc1 .LBB0_252
.LBB0_253:                              ;   in Loop: Header=BB0_221 Depth=1
	s_wait_xcnt 0x0
	s_mov_b64 s[20:21], s[2:3]
	s_mov_b32 s9, 0
	s_cbranch_execz .LBB0_255
	s_branch .LBB0_256
.LBB0_254:                              ;   in Loop: Header=BB0_221 Depth=1
	s_wait_xcnt 0x0
	s_add_nc_u64 s[20:21], s[2:3], 8
	s_mov_b32 s9, 0
.LBB0_255:                              ;   in Loop: Header=BB0_221 Depth=1
	global_load_b64 v[22:23], v13, s[2:3]
	s_add_co_i32 s9, s12, -8
.LBB0_256:                              ;   in Loop: Header=BB0_221 Depth=1
	s_delay_alu instid0(SALU_CYCLE_1)
	s_cmp_gt_u32 s9, 7
	s_cbranch_scc1 .LBB0_261
; %bb.257:                              ;   in Loop: Header=BB0_221 Depth=1
	v_mov_b64_e32 v[24:25], 0
	s_cmp_eq_u32 s9, 0
	s_cbranch_scc1 .LBB0_260
; %bb.258:                              ;   in Loop: Header=BB0_221 Depth=1
	s_wait_xcnt 0x0
	s_mov_b64 s[2:3], 0
	s_mov_b64 s[22:23], 0
.LBB0_259:                              ;   Parent Loop BB0_221 Depth=1
                                        ; =>  This Inner Loop Header: Depth=2
	s_wait_xcnt 0x0
	s_add_nc_u64 s[26:27], s[20:21], s[22:23]
	s_add_nc_u64 s[22:23], s[22:23], 1
	global_load_u8 v1, v13, s[26:27]
	s_cmp_lg_u32 s9, s22
	s_wait_loadcnt 0x0
	v_and_b32_e32 v12, 0xffff, v1
	s_delay_alu instid0(VALU_DEP_1) | instskip(SKIP_1) | instid1(VALU_DEP_1)
	v_lshlrev_b64_e32 v[26:27], s2, v[12:13]
	s_add_nc_u64 s[2:3], s[2:3], 8
	v_or_b32_e32 v24, v26, v24
	s_delay_alu instid0(VALU_DEP_2)
	v_or_b32_e32 v25, v27, v25
	s_cbranch_scc1 .LBB0_259
.LBB0_260:                              ;   in Loop: Header=BB0_221 Depth=1
	s_wait_xcnt 0x0
	s_mov_b64 s[2:3], s[20:21]
	s_mov_b32 s12, 0
	s_cbranch_execz .LBB0_262
	s_branch .LBB0_263
.LBB0_261:                              ;   in Loop: Header=BB0_221 Depth=1
	s_wait_xcnt 0x0
	s_add_nc_u64 s[2:3], s[20:21], 8
                                        ; implicit-def: $vgpr24_vgpr25
	s_mov_b32 s12, 0
.LBB0_262:                              ;   in Loop: Header=BB0_221 Depth=1
	global_load_b64 v[24:25], v13, s[20:21]
	s_add_co_i32 s12, s9, -8
.LBB0_263:                              ;   in Loop: Header=BB0_221 Depth=1
	s_delay_alu instid0(SALU_CYCLE_1)
	s_cmp_gt_u32 s12, 7
	s_cbranch_scc1 .LBB0_268
; %bb.264:                              ;   in Loop: Header=BB0_221 Depth=1
	v_mov_b64_e32 v[26:27], 0
	s_cmp_eq_u32 s12, 0
	s_cbranch_scc1 .LBB0_267
; %bb.265:                              ;   in Loop: Header=BB0_221 Depth=1
	s_wait_xcnt 0x0
	s_mov_b64 s[20:21], 0
	s_mov_b64 s[22:23], s[2:3]
.LBB0_266:                              ;   Parent Loop BB0_221 Depth=1
                                        ; =>  This Inner Loop Header: Depth=2
	global_load_u8 v1, v13, s[22:23]
	s_add_co_i32 s12, s12, -1
	s_wait_xcnt 0x0
	s_add_nc_u64 s[22:23], s[22:23], 1
	s_cmp_lg_u32 s12, 0
	s_wait_loadcnt 0x0
	v_and_b32_e32 v12, 0xffff, v1
	s_delay_alu instid0(VALU_DEP_1) | instskip(SKIP_1) | instid1(VALU_DEP_1)
	v_lshlrev_b64_e32 v[28:29], s20, v[12:13]
	s_add_nc_u64 s[20:21], s[20:21], 8
	v_or_b32_e32 v26, v28, v26
	s_delay_alu instid0(VALU_DEP_2)
	v_or_b32_e32 v27, v29, v27
	s_cbranch_scc1 .LBB0_266
.LBB0_267:                              ;   in Loop: Header=BB0_221 Depth=1
	s_cbranch_execz .LBB0_269
	s_branch .LBB0_270
.LBB0_268:                              ;   in Loop: Header=BB0_221 Depth=1
.LBB0_269:                              ;   in Loop: Header=BB0_221 Depth=1
	global_load_b64 v[26:27], v13, s[2:3]
.LBB0_270:                              ;   in Loop: Header=BB0_221 Depth=1
	s_wait_xcnt 0x0
	v_readfirstlane_b32 s2, v3
	v_mov_b64_e32 v[32:33], 0
	s_delay_alu instid0(VALU_DEP_2)
	v_cmp_eq_u32_e64 s2, s2, v3
	s_and_saveexec_b32 s3, s2
	s_cbranch_execz .LBB0_276
; %bb.271:                              ;   in Loop: Header=BB0_221 Depth=1
	global_load_b64 v[30:31], v13, s[10:11] offset:24 scope:SCOPE_SYS
	s_wait_loadcnt 0x0
	global_inv scope:SCOPE_SYS
	s_clause 0x1
	global_load_b64 v[28:29], v13, s[10:11] offset:40
	global_load_b64 v[32:33], v13, s[10:11]
	s_mov_b32 s9, exec_lo
	s_wait_loadcnt 0x1
	v_and_b32_e32 v28, v28, v30
	v_and_b32_e32 v29, v29, v31
	s_delay_alu instid0(VALU_DEP_1) | instskip(SKIP_1) | instid1(VALU_DEP_1)
	v_mul_u64_e32 v[28:29], 24, v[28:29]
	s_wait_loadcnt 0x0
	v_add_nc_u64_e32 v[28:29], v[32:33], v[28:29]
	global_load_b64 v[28:29], v[28:29], off scope:SCOPE_SYS
	s_wait_xcnt 0x0
	s_wait_loadcnt 0x0
	global_atomic_cmpswap_b64 v[32:33], v13, v[28:31], s[10:11] offset:24 th:TH_ATOMIC_RETURN scope:SCOPE_SYS
	s_wait_loadcnt 0x0
	global_inv scope:SCOPE_SYS
	s_wait_xcnt 0x0
	v_cmpx_ne_u64_e64 v[32:33], v[30:31]
	s_cbranch_execz .LBB0_275
; %bb.272:                              ;   in Loop: Header=BB0_221 Depth=1
	s_mov_b32 s12, 0
.LBB0_273:                              ;   Parent Loop BB0_221 Depth=1
                                        ; =>  This Inner Loop Header: Depth=2
	s_sleep 1
	s_clause 0x1
	global_load_b64 v[28:29], v13, s[10:11] offset:40
	global_load_b64 v[34:35], v13, s[10:11]
	v_mov_b64_e32 v[30:31], v[32:33]
	s_wait_loadcnt 0x1
	s_delay_alu instid0(VALU_DEP_1) | instskip(SKIP_1) | instid1(VALU_DEP_1)
	v_and_b32_e32 v1, v28, v30
	s_wait_loadcnt 0x0
	v_mad_nc_u64_u32 v[32:33], v1, 24, v[34:35]
	s_delay_alu instid0(VALU_DEP_3) | instskip(NEXT) | instid1(VALU_DEP_1)
	v_and_b32_e32 v1, v29, v31
	v_mad_u32 v33, v1, 24, v33
	global_load_b64 v[28:29], v[32:33], off scope:SCOPE_SYS
	s_wait_xcnt 0x0
	s_wait_loadcnt 0x0
	global_atomic_cmpswap_b64 v[32:33], v13, v[28:31], s[10:11] offset:24 th:TH_ATOMIC_RETURN scope:SCOPE_SYS
	s_wait_loadcnt 0x0
	global_inv scope:SCOPE_SYS
	v_cmp_eq_u64_e32 vcc_lo, v[32:33], v[30:31]
	s_or_b32 s12, vcc_lo, s12
	s_wait_xcnt 0x0
	s_and_not1_b32 exec_lo, exec_lo, s12
	s_cbranch_execnz .LBB0_273
; %bb.274:                              ;   in Loop: Header=BB0_221 Depth=1
	s_or_b32 exec_lo, exec_lo, s12
.LBB0_275:                              ;   in Loop: Header=BB0_221 Depth=1
	s_delay_alu instid0(SALU_CYCLE_1)
	s_or_b32 exec_lo, exec_lo, s9
.LBB0_276:                              ;   in Loop: Header=BB0_221 Depth=1
	s_delay_alu instid0(SALU_CYCLE_1)
	s_or_b32 exec_lo, exec_lo, s3
	s_clause 0x1
	global_load_b64 v[34:35], v13, s[10:11] offset:40
	global_load_b128 v[28:31], v13, s[10:11]
	v_readfirstlane_b32 s20, v32
	v_readfirstlane_b32 s21, v33
	s_mov_b32 s3, exec_lo
	s_wait_loadcnt 0x1
	v_and_b32_e32 v34, s20, v34
	v_and_b32_e32 v35, s21, v35
	s_delay_alu instid0(VALU_DEP_1) | instskip(SKIP_1) | instid1(VALU_DEP_1)
	v_mul_u64_e32 v[32:33], 24, v[34:35]
	s_wait_loadcnt 0x0
	v_add_nc_u64_e32 v[32:33], v[28:29], v[32:33]
	s_wait_xcnt 0x0
	s_and_saveexec_b32 s9, s2
	s_cbranch_execz .LBB0_278
; %bb.277:                              ;   in Loop: Header=BB0_221 Depth=1
	v_mov_b32_e32 v12, s3
	global_store_b128 v[32:33], v[12:15], off offset:8
.LBB0_278:                              ;   in Loop: Header=BB0_221 Depth=1
	s_wait_xcnt 0x0
	s_or_b32 exec_lo, exec_lo, s9
	v_cmp_lt_u64_e64 vcc_lo, s[16:17], 57
	v_lshlrev_b64_e32 v[34:35], 12, v[34:35]
	v_and_b32_e32 v5, 0xffffff1f, v8
	s_lshl_b32 s3, s18, 2
	s_delay_alu instid0(SALU_CYCLE_1) | instskip(SKIP_1) | instid1(VALU_DEP_3)
	s_add_co_i32 s3, s3, 28
	v_cndmask_b32_e32 v1, 0, v0, vcc_lo
	v_add_nc_u64_e32 v[30:31], v[30:31], v[34:35]
	s_delay_alu instid0(VALU_DEP_2) | instskip(NEXT) | instid1(VALU_DEP_2)
	v_or_b32_e32 v1, v5, v1
	v_readfirstlane_b32 s22, v30
	s_delay_alu instid0(VALU_DEP_3) | instskip(NEXT) | instid1(VALU_DEP_3)
	v_readfirstlane_b32 s23, v31
	v_and_or_b32 v8, 0x1e0, s3, v1
	s_clause 0x3
	global_store_b128 v4, v[8:11], s[22:23]
	global_store_b128 v4, v[16:19], s[22:23] offset:16
	global_store_b128 v4, v[20:23], s[22:23] offset:32
	;; [unrolled: 1-line block ×3, first 2 shown]
	s_wait_xcnt 0x0
	s_and_saveexec_b32 s3, s2
	s_cbranch_execz .LBB0_286
; %bb.279:                              ;   in Loop: Header=BB0_221 Depth=1
	s_clause 0x1
	global_load_b64 v[20:21], v13, s[10:11] offset:32 scope:SCOPE_SYS
	global_load_b64 v[8:9], v13, s[10:11] offset:40
	s_mov_b32 s9, exec_lo
	v_dual_mov_b32 v18, s20 :: v_dual_mov_b32 v19, s21
	s_wait_loadcnt 0x0
	v_and_b32_e32 v9, s21, v9
	v_and_b32_e32 v8, s20, v8
	s_delay_alu instid0(VALU_DEP_1) | instskip(NEXT) | instid1(VALU_DEP_1)
	v_mul_u64_e32 v[8:9], 24, v[8:9]
	v_add_nc_u64_e32 v[16:17], v[28:29], v[8:9]
	global_store_b64 v[16:17], v[20:21], off
	global_wb scope:SCOPE_SYS
	s_wait_storecnt 0x0
	s_wait_xcnt 0x0
	global_atomic_cmpswap_b64 v[10:11], v13, v[18:21], s[10:11] offset:32 th:TH_ATOMIC_RETURN scope:SCOPE_SYS
	s_wait_loadcnt 0x0
	v_cmpx_ne_u64_e64 v[10:11], v[20:21]
	s_cbranch_execz .LBB0_282
; %bb.280:                              ;   in Loop: Header=BB0_221 Depth=1
	s_mov_b32 s12, 0
.LBB0_281:                              ;   Parent Loop BB0_221 Depth=1
                                        ; =>  This Inner Loop Header: Depth=2
	v_dual_mov_b32 v8, s20 :: v_dual_mov_b32 v9, s21
	s_sleep 1
	global_store_b64 v[16:17], v[10:11], off
	global_wb scope:SCOPE_SYS
	s_wait_storecnt 0x0
	s_wait_xcnt 0x0
	global_atomic_cmpswap_b64 v[8:9], v13, v[8:11], s[10:11] offset:32 th:TH_ATOMIC_RETURN scope:SCOPE_SYS
	s_wait_loadcnt 0x0
	v_cmp_eq_u64_e32 vcc_lo, v[8:9], v[10:11]
	v_mov_b64_e32 v[10:11], v[8:9]
	s_or_b32 s12, vcc_lo, s12
	s_delay_alu instid0(SALU_CYCLE_1)
	s_and_not1_b32 exec_lo, exec_lo, s12
	s_cbranch_execnz .LBB0_281
.LBB0_282:                              ;   in Loop: Header=BB0_221 Depth=1
	s_or_b32 exec_lo, exec_lo, s9
	global_load_b64 v[8:9], v13, s[10:11] offset:16
	s_mov_b32 s12, exec_lo
	s_mov_b32 s9, exec_lo
	v_mbcnt_lo_u32_b32 v1, s12, 0
	s_wait_xcnt 0x0
	s_delay_alu instid0(VALU_DEP_1)
	v_cmpx_eq_u32_e32 0, v1
	s_cbranch_execz .LBB0_284
; %bb.283:                              ;   in Loop: Header=BB0_221 Depth=1
	s_bcnt1_i32_b32 s12, s12
	s_delay_alu instid0(SALU_CYCLE_1)
	v_mov_b32_e32 v12, s12
	global_wb scope:SCOPE_SYS
	s_wait_loadcnt 0x0
	s_wait_storecnt 0x0
	global_atomic_add_u64 v[8:9], v[12:13], off offset:8 scope:SCOPE_SYS
.LBB0_284:                              ;   in Loop: Header=BB0_221 Depth=1
	s_wait_xcnt 0x0
	s_or_b32 exec_lo, exec_lo, s9
	s_wait_loadcnt 0x0
	global_load_b64 v[10:11], v[8:9], off offset:16
	s_wait_loadcnt 0x0
	v_cmp_eq_u64_e32 vcc_lo, 0, v[10:11]
	s_cbranch_vccnz .LBB0_286
; %bb.285:                              ;   in Loop: Header=BB0_221 Depth=1
	global_load_b32 v12, v[8:9], off offset:24
	s_wait_loadcnt 0x0
	v_readfirstlane_b32 s9, v12
	global_wb scope:SCOPE_SYS
	s_wait_storecnt 0x0
	s_wait_xcnt 0x0
	global_store_b64 v[10:11], v[12:13], off scope:SCOPE_SYS
	s_and_b32 m0, s9, 0xffffff
	s_sendmsg sendmsg(MSG_INTERRUPT)
.LBB0_286:                              ;   in Loop: Header=BB0_221 Depth=1
	s_wait_xcnt 0x0
	s_or_b32 exec_lo, exec_lo, s3
	v_mov_b32_e32 v5, v13
	s_delay_alu instid0(VALU_DEP_1)
	v_add_nc_u64_e32 v[8:9], v[30:31], v[4:5]
	s_branch .LBB0_290
.LBB0_287:                              ;   in Loop: Header=BB0_290 Depth=2
	s_wait_xcnt 0x0
	s_or_b32 exec_lo, exec_lo, s3
	s_delay_alu instid0(VALU_DEP_1)
	v_readfirstlane_b32 s3, v1
	s_cmp_eq_u32 s3, 0
	s_cbranch_scc1 .LBB0_289
; %bb.288:                              ;   in Loop: Header=BB0_290 Depth=2
	s_sleep 1
	s_cbranch_execnz .LBB0_290
	s_branch .LBB0_292
.LBB0_289:                              ;   in Loop: Header=BB0_221 Depth=1
	s_branch .LBB0_292
.LBB0_290:                              ;   Parent Loop BB0_221 Depth=1
                                        ; =>  This Inner Loop Header: Depth=2
	v_mov_b32_e32 v1, 1
	s_and_saveexec_b32 s3, s2
	s_cbranch_execz .LBB0_287
; %bb.291:                              ;   in Loop: Header=BB0_290 Depth=2
	global_load_b32 v1, v[32:33], off offset:20 scope:SCOPE_SYS
	s_wait_loadcnt 0x0
	global_inv scope:SCOPE_SYS
	v_and_b32_e32 v1, 1, v1
	s_branch .LBB0_287
.LBB0_292:                              ;   in Loop: Header=BB0_221 Depth=1
	global_load_b64 v[8:9], v[8:9], off
	s_wait_xcnt 0x0
	s_and_saveexec_b32 s9, s2
	s_cbranch_execz .LBB0_220
; %bb.293:                              ;   in Loop: Header=BB0_221 Depth=1
	s_clause 0x2
	global_load_b64 v[10:11], v13, s[10:11] offset:40
	global_load_b64 v[20:21], v13, s[10:11] offset:24 scope:SCOPE_SYS
	global_load_b64 v[16:17], v13, s[10:11]
	s_wait_loadcnt 0x2
	v_readfirstlane_b32 s22, v10
	v_readfirstlane_b32 s23, v11
	s_add_nc_u64 s[2:3], s[22:23], 1
	s_delay_alu instid0(SALU_CYCLE_1) | instskip(NEXT) | instid1(SALU_CYCLE_1)
	s_add_nc_u64 s[20:21], s[2:3], s[20:21]
	s_cmp_eq_u64 s[20:21], 0
	s_cselect_b32 s3, s3, s21
	s_cselect_b32 s2, s2, s20
	s_delay_alu instid0(SALU_CYCLE_1) | instskip(SKIP_1) | instid1(SALU_CYCLE_1)
	v_dual_mov_b32 v19, s3 :: v_dual_mov_b32 v18, s2
	s_and_b64 s[20:21], s[2:3], s[22:23]
	s_mul_u64 s[20:21], s[20:21], 24
	s_wait_loadcnt 0x0
	v_add_nc_u64_e32 v[10:11], s[20:21], v[16:17]
	global_store_b64 v[10:11], v[20:21], off
	global_wb scope:SCOPE_SYS
	s_wait_storecnt 0x0
	s_wait_xcnt 0x0
	global_atomic_cmpswap_b64 v[18:19], v13, v[18:21], s[10:11] offset:24 th:TH_ATOMIC_RETURN scope:SCOPE_SYS
	s_wait_loadcnt 0x0
	v_cmp_ne_u64_e32 vcc_lo, v[18:19], v[20:21]
	s_and_b32 exec_lo, exec_lo, vcc_lo
	s_cbranch_execz .LBB0_220
; %bb.294:                              ;   in Loop: Header=BB0_221 Depth=1
	s_mov_b32 s12, 0
.LBB0_295:                              ;   Parent Loop BB0_221 Depth=1
                                        ; =>  This Inner Loop Header: Depth=2
	v_dual_mov_b32 v16, s2 :: v_dual_mov_b32 v17, s3
	s_sleep 1
	global_store_b64 v[10:11], v[18:19], off
	global_wb scope:SCOPE_SYS
	s_wait_storecnt 0x0
	s_wait_xcnt 0x0
	global_atomic_cmpswap_b64 v[16:17], v13, v[16:19], s[10:11] offset:24 th:TH_ATOMIC_RETURN scope:SCOPE_SYS
	s_wait_loadcnt 0x0
	v_cmp_eq_u64_e32 vcc_lo, v[16:17], v[18:19]
	v_mov_b64_e32 v[18:19], v[16:17]
	s_or_b32 s12, vcc_lo, s12
	s_delay_alu instid0(SALU_CYCLE_1)
	s_and_not1_b32 exec_lo, exec_lo, s12
	s_cbranch_execnz .LBB0_295
	s_branch .LBB0_220
.LBB0_296:
	s_branch .LBB0_325
.LBB0_297:
                                        ; implicit-def: $vgpr8_vgpr9
	s_cbranch_execz .LBB0_325
; %bb.298:
	v_readfirstlane_b32 s2, v3
	v_mov_b64_e32 v[0:1], 0
	s_delay_alu instid0(VALU_DEP_2)
	v_cmp_eq_u32_e64 s2, s2, v3
	s_and_saveexec_b32 s3, s2
	s_cbranch_execz .LBB0_304
; %bb.299:
	v_mov_b32_e32 v5, 0
	s_mov_b32 s9, exec_lo
	global_load_b64 v[10:11], v5, s[10:11] offset:24 scope:SCOPE_SYS
	s_wait_loadcnt 0x0
	global_inv scope:SCOPE_SYS
	s_clause 0x1
	global_load_b64 v[0:1], v5, s[10:11] offset:40
	global_load_b64 v[8:9], v5, s[10:11]
	s_wait_loadcnt 0x1
	v_and_b32_e32 v0, v0, v10
	v_and_b32_e32 v1, v1, v11
	s_delay_alu instid0(VALU_DEP_1) | instskip(SKIP_1) | instid1(VALU_DEP_1)
	v_mul_u64_e32 v[0:1], 24, v[0:1]
	s_wait_loadcnt 0x0
	v_add_nc_u64_e32 v[0:1], v[8:9], v[0:1]
	global_load_b64 v[8:9], v[0:1], off scope:SCOPE_SYS
	s_wait_xcnt 0x0
	s_wait_loadcnt 0x0
	global_atomic_cmpswap_b64 v[0:1], v5, v[8:11], s[10:11] offset:24 th:TH_ATOMIC_RETURN scope:SCOPE_SYS
	s_wait_loadcnt 0x0
	global_inv scope:SCOPE_SYS
	s_wait_xcnt 0x0
	v_cmpx_ne_u64_e64 v[0:1], v[10:11]
	s_cbranch_execz .LBB0_303
; %bb.300:
	s_mov_b32 s12, 0
.LBB0_301:                              ; =>This Inner Loop Header: Depth=1
	s_sleep 1
	s_clause 0x1
	global_load_b64 v[8:9], v5, s[10:11] offset:40
	global_load_b64 v[12:13], v5, s[10:11]
	v_mov_b64_e32 v[10:11], v[0:1]
	s_wait_loadcnt 0x1
	s_delay_alu instid0(VALU_DEP_1) | instskip(NEXT) | instid1(VALU_DEP_2)
	v_and_b32_e32 v0, v8, v10
	v_and_b32_e32 v8, v9, v11
	s_wait_loadcnt 0x0
	s_delay_alu instid0(VALU_DEP_2) | instskip(NEXT) | instid1(VALU_DEP_1)
	v_mad_nc_u64_u32 v[0:1], v0, 24, v[12:13]
	v_mad_u32 v1, v8, 24, v1
	global_load_b64 v[8:9], v[0:1], off scope:SCOPE_SYS
	s_wait_xcnt 0x0
	s_wait_loadcnt 0x0
	global_atomic_cmpswap_b64 v[0:1], v5, v[8:11], s[10:11] offset:24 th:TH_ATOMIC_RETURN scope:SCOPE_SYS
	s_wait_loadcnt 0x0
	global_inv scope:SCOPE_SYS
	v_cmp_eq_u64_e32 vcc_lo, v[0:1], v[10:11]
	s_or_b32 s12, vcc_lo, s12
	s_wait_xcnt 0x0
	s_and_not1_b32 exec_lo, exec_lo, s12
	s_cbranch_execnz .LBB0_301
; %bb.302:
	s_or_b32 exec_lo, exec_lo, s12
.LBB0_303:
	s_delay_alu instid0(SALU_CYCLE_1)
	s_or_b32 exec_lo, exec_lo, s9
.LBB0_304:
	s_delay_alu instid0(SALU_CYCLE_1)
	s_or_b32 exec_lo, exec_lo, s3
	v_readfirstlane_b32 s14, v0
	v_mov_b32_e32 v5, 0
	v_readfirstlane_b32 s15, v1
	s_mov_b32 s3, exec_lo
	s_wait_loadcnt 0x0
	s_clause 0x1
	global_load_b64 v[8:9], v5, s[10:11] offset:40
	global_load_b128 v[10:13], v5, s[10:11]
	s_wait_loadcnt 0x1
	v_and_b32_e32 v8, s14, v8
	v_and_b32_e32 v9, s15, v9
	s_delay_alu instid0(VALU_DEP_1) | instskip(SKIP_1) | instid1(VALU_DEP_1)
	v_mul_u64_e32 v[0:1], 24, v[8:9]
	s_wait_loadcnt 0x0
	v_add_nc_u64_e32 v[0:1], v[10:11], v[0:1]
	s_wait_xcnt 0x0
	s_and_saveexec_b32 s9, s2
	s_cbranch_execz .LBB0_306
; %bb.305:
	v_mov_b64_e32 v[16:17], 0x100000002
	v_dual_mov_b32 v14, s3 :: v_dual_mov_b32 v15, v5
	global_store_b128 v[0:1], v[14:17], off offset:8
.LBB0_306:
	s_wait_xcnt 0x0
	s_or_b32 exec_lo, exec_lo, s9
	v_lshlrev_b64_e32 v[8:9], 12, v[8:9]
	s_mov_b32 s16, 0
	v_and_or_b32 v6, 0xffffff1f, v6, 32
	s_mov_b32 s17, s16
	s_mov_b32 s18, s16
	s_mov_b32 s19, s16
	v_mov_b64_e32 v[14:15], s[16:17]
	v_add_nc_u64_e32 v[12:13], v[12:13], v[8:9]
	v_mov_b64_e32 v[16:17], s[18:19]
	v_dual_mov_b32 v8, v5 :: v_dual_mov_b32 v9, v5
	s_delay_alu instid0(VALU_DEP_3) | instskip(NEXT) | instid1(VALU_DEP_4)
	v_readfirstlane_b32 s20, v12
	v_readfirstlane_b32 s21, v13
	s_clause 0x3
	global_store_b128 v4, v[6:9], s[20:21]
	global_store_b128 v4, v[14:17], s[20:21] offset:16
	global_store_b128 v4, v[14:17], s[20:21] offset:32
	;; [unrolled: 1-line block ×3, first 2 shown]
	s_wait_xcnt 0x0
	s_and_saveexec_b32 s3, s2
	s_cbranch_execz .LBB0_314
; %bb.307:
	v_dual_mov_b32 v14, 0 :: v_dual_mov_b32 v17, s15
	s_mov_b32 s9, exec_lo
	s_clause 0x1
	global_load_b64 v[18:19], v14, s[10:11] offset:32 scope:SCOPE_SYS
	global_load_b64 v[6:7], v14, s[10:11] offset:40
	s_wait_loadcnt 0x0
	v_dual_mov_b32 v16, s14 :: v_dual_bitop2_b32 v7, s15, v7 bitop3:0x40
	v_and_b32_e32 v6, s14, v6
	s_delay_alu instid0(VALU_DEP_1) | instskip(NEXT) | instid1(VALU_DEP_1)
	v_mul_u64_e32 v[6:7], 24, v[6:7]
	v_add_nc_u64_e32 v[10:11], v[10:11], v[6:7]
	global_store_b64 v[10:11], v[18:19], off
	global_wb scope:SCOPE_SYS
	s_wait_storecnt 0x0
	s_wait_xcnt 0x0
	global_atomic_cmpswap_b64 v[8:9], v14, v[16:19], s[10:11] offset:32 th:TH_ATOMIC_RETURN scope:SCOPE_SYS
	s_wait_loadcnt 0x0
	v_cmpx_ne_u64_e64 v[8:9], v[18:19]
	s_cbranch_execz .LBB0_310
; %bb.308:
	s_mov_b32 s12, 0
.LBB0_309:                              ; =>This Inner Loop Header: Depth=1
	v_dual_mov_b32 v6, s14 :: v_dual_mov_b32 v7, s15
	s_sleep 1
	global_store_b64 v[10:11], v[8:9], off
	global_wb scope:SCOPE_SYS
	s_wait_storecnt 0x0
	s_wait_xcnt 0x0
	global_atomic_cmpswap_b64 v[6:7], v14, v[6:9], s[10:11] offset:32 th:TH_ATOMIC_RETURN scope:SCOPE_SYS
	s_wait_loadcnt 0x0
	v_cmp_eq_u64_e32 vcc_lo, v[6:7], v[8:9]
	v_mov_b64_e32 v[8:9], v[6:7]
	s_or_b32 s12, vcc_lo, s12
	s_delay_alu instid0(SALU_CYCLE_1)
	s_and_not1_b32 exec_lo, exec_lo, s12
	s_cbranch_execnz .LBB0_309
.LBB0_310:
	s_or_b32 exec_lo, exec_lo, s9
	v_mov_b32_e32 v9, 0
	s_mov_b32 s12, exec_lo
	s_mov_b32 s9, exec_lo
	v_mbcnt_lo_u32_b32 v8, s12, 0
	global_load_b64 v[6:7], v9, s[10:11] offset:16
	s_wait_xcnt 0x0
	v_cmpx_eq_u32_e32 0, v8
	s_cbranch_execz .LBB0_312
; %bb.311:
	s_bcnt1_i32_b32 s12, s12
	s_delay_alu instid0(SALU_CYCLE_1)
	v_mov_b32_e32 v8, s12
	global_wb scope:SCOPE_SYS
	s_wait_loadcnt 0x0
	s_wait_storecnt 0x0
	global_atomic_add_u64 v[6:7], v[8:9], off offset:8 scope:SCOPE_SYS
.LBB0_312:
	s_wait_xcnt 0x0
	s_or_b32 exec_lo, exec_lo, s9
	s_wait_loadcnt 0x0
	global_load_b64 v[8:9], v[6:7], off offset:16
	s_wait_loadcnt 0x0
	v_cmp_eq_u64_e32 vcc_lo, 0, v[8:9]
	s_cbranch_vccnz .LBB0_314
; %bb.313:
	global_load_b32 v6, v[6:7], off offset:24
	s_wait_xcnt 0x0
	v_mov_b32_e32 v7, 0
	s_wait_loadcnt 0x0
	v_readfirstlane_b32 s9, v6
	global_wb scope:SCOPE_SYS
	s_wait_storecnt 0x0
	global_store_b64 v[8:9], v[6:7], off scope:SCOPE_SYS
	s_and_b32 m0, s9, 0xffffff
	s_sendmsg sendmsg(MSG_INTERRUPT)
.LBB0_314:
	s_wait_xcnt 0x0
	s_or_b32 exec_lo, exec_lo, s3
	v_add_nc_u64_e32 v[6:7], v[12:13], v[4:5]
	s_branch .LBB0_318
.LBB0_315:                              ;   in Loop: Header=BB0_318 Depth=1
	s_wait_xcnt 0x0
	s_or_b32 exec_lo, exec_lo, s3
	s_delay_alu instid0(VALU_DEP_1)
	v_readfirstlane_b32 s3, v5
	s_cmp_eq_u32 s3, 0
	s_cbranch_scc1 .LBB0_317
; %bb.316:                              ;   in Loop: Header=BB0_318 Depth=1
	s_sleep 1
	s_cbranch_execnz .LBB0_318
	s_branch .LBB0_320
.LBB0_317:
	s_branch .LBB0_320
.LBB0_318:                              ; =>This Inner Loop Header: Depth=1
	v_mov_b32_e32 v5, 1
	s_and_saveexec_b32 s3, s2
	s_cbranch_execz .LBB0_315
; %bb.319:                              ;   in Loop: Header=BB0_318 Depth=1
	global_load_b32 v5, v[0:1], off offset:20 scope:SCOPE_SYS
	s_wait_loadcnt 0x0
	global_inv scope:SCOPE_SYS
	v_and_b32_e32 v5, 1, v5
	s_branch .LBB0_315
.LBB0_320:
	global_load_b64 v[8:9], v[6:7], off
	s_wait_xcnt 0x0
	s_and_saveexec_b32 s9, s2
	s_cbranch_execz .LBB0_324
; %bb.321:
	v_mov_b32_e32 v5, 0
	s_clause 0x2
	global_load_b64 v[0:1], v5, s[10:11] offset:40
	global_load_b64 v[14:15], v5, s[10:11] offset:24 scope:SCOPE_SYS
	global_load_b64 v[6:7], v5, s[10:11]
	s_wait_loadcnt 0x2
	v_readfirstlane_b32 s16, v0
	v_readfirstlane_b32 s17, v1
	s_add_nc_u64 s[2:3], s[16:17], 1
	s_delay_alu instid0(SALU_CYCLE_1) | instskip(NEXT) | instid1(SALU_CYCLE_1)
	s_add_nc_u64 s[14:15], s[2:3], s[14:15]
	s_cmp_eq_u64 s[14:15], 0
	s_cselect_b32 s3, s3, s15
	s_cselect_b32 s2, s2, s14
	v_mov_b32_e32 v13, s3
	s_and_b64 s[14:15], s[2:3], s[16:17]
	v_mov_b32_e32 v12, s2
	s_mul_u64 s[14:15], s[14:15], 24
	s_wait_loadcnt 0x0
	v_add_nc_u64_e32 v[0:1], s[14:15], v[6:7]
	global_store_b64 v[0:1], v[14:15], off
	global_wb scope:SCOPE_SYS
	s_wait_storecnt 0x0
	s_wait_xcnt 0x0
	global_atomic_cmpswap_b64 v[12:13], v5, v[12:15], s[10:11] offset:24 th:TH_ATOMIC_RETURN scope:SCOPE_SYS
	s_wait_loadcnt 0x0
	v_cmp_ne_u64_e32 vcc_lo, v[12:13], v[14:15]
	s_and_b32 exec_lo, exec_lo, vcc_lo
	s_cbranch_execz .LBB0_324
; %bb.322:
	s_mov_b32 s12, 0
.LBB0_323:                              ; =>This Inner Loop Header: Depth=1
	v_dual_mov_b32 v10, s2 :: v_dual_mov_b32 v11, s3
	s_sleep 1
	global_store_b64 v[0:1], v[12:13], off
	global_wb scope:SCOPE_SYS
	s_wait_storecnt 0x0
	s_wait_xcnt 0x0
	global_atomic_cmpswap_b64 v[6:7], v5, v[10:13], s[10:11] offset:24 th:TH_ATOMIC_RETURN scope:SCOPE_SYS
	s_wait_loadcnt 0x0
	v_cmp_eq_u64_e32 vcc_lo, v[6:7], v[12:13]
	v_mov_b64_e32 v[12:13], v[6:7]
	s_or_b32 s12, vcc_lo, s12
	s_delay_alu instid0(SALU_CYCLE_1)
	s_and_not1_b32 exec_lo, exec_lo, s12
	s_cbranch_execnz .LBB0_323
.LBB0_324:
	s_or_b32 exec_lo, exec_lo, s9
.LBB0_325:
	v_readfirstlane_b32 s2, v3
	v_mov_b64_e32 v[0:1], 0
	s_delay_alu instid0(VALU_DEP_2)
	v_cmp_eq_u32_e64 s2, s2, v3
	s_and_saveexec_b32 s3, s2
	s_cbranch_execz .LBB0_331
; %bb.326:
	v_mov_b32_e32 v5, 0
	s_mov_b32 s9, exec_lo
	global_load_b64 v[12:13], v5, s[10:11] offset:24 scope:SCOPE_SYS
	s_wait_loadcnt 0x0
	global_inv scope:SCOPE_SYS
	s_clause 0x1
	global_load_b64 v[0:1], v5, s[10:11] offset:40
	global_load_b64 v[6:7], v5, s[10:11]
	s_wait_loadcnt 0x1
	v_and_b32_e32 v0, v0, v12
	v_and_b32_e32 v1, v1, v13
	s_delay_alu instid0(VALU_DEP_1) | instskip(SKIP_1) | instid1(VALU_DEP_1)
	v_mul_u64_e32 v[0:1], 24, v[0:1]
	s_wait_loadcnt 0x0
	v_add_nc_u64_e32 v[0:1], v[6:7], v[0:1]
	global_load_b64 v[10:11], v[0:1], off scope:SCOPE_SYS
	s_wait_xcnt 0x0
	s_wait_loadcnt 0x0
	global_atomic_cmpswap_b64 v[0:1], v5, v[10:13], s[10:11] offset:24 th:TH_ATOMIC_RETURN scope:SCOPE_SYS
	s_wait_loadcnt 0x0
	global_inv scope:SCOPE_SYS
	s_wait_xcnt 0x0
	v_cmpx_ne_u64_e64 v[0:1], v[12:13]
	s_cbranch_execz .LBB0_330
; %bb.327:
	s_mov_b32 s12, 0
.LBB0_328:                              ; =>This Inner Loop Header: Depth=1
	s_sleep 1
	s_clause 0x1
	global_load_b64 v[6:7], v5, s[10:11] offset:40
	global_load_b64 v[10:11], v5, s[10:11]
	v_mov_b64_e32 v[12:13], v[0:1]
	s_wait_loadcnt 0x1
	s_delay_alu instid0(VALU_DEP_1) | instskip(NEXT) | instid1(VALU_DEP_2)
	v_and_b32_e32 v0, v6, v12
	v_and_b32_e32 v6, v7, v13
	s_wait_loadcnt 0x0
	s_delay_alu instid0(VALU_DEP_2) | instskip(NEXT) | instid1(VALU_DEP_1)
	v_mad_nc_u64_u32 v[0:1], v0, 24, v[10:11]
	v_mad_u32 v1, v6, 24, v1
	global_load_b64 v[10:11], v[0:1], off scope:SCOPE_SYS
	s_wait_xcnt 0x0
	s_wait_loadcnt 0x0
	global_atomic_cmpswap_b64 v[0:1], v5, v[10:13], s[10:11] offset:24 th:TH_ATOMIC_RETURN scope:SCOPE_SYS
	s_wait_loadcnt 0x0
	global_inv scope:SCOPE_SYS
	v_cmp_eq_u64_e32 vcc_lo, v[0:1], v[12:13]
	s_or_b32 s12, vcc_lo, s12
	s_wait_xcnt 0x0
	s_and_not1_b32 exec_lo, exec_lo, s12
	s_cbranch_execnz .LBB0_328
; %bb.329:
	s_or_b32 exec_lo, exec_lo, s12
.LBB0_330:
	s_delay_alu instid0(SALU_CYCLE_1)
	s_or_b32 exec_lo, exec_lo, s9
.LBB0_331:
	s_delay_alu instid0(SALU_CYCLE_1)
	s_or_b32 exec_lo, exec_lo, s3
	v_readfirstlane_b32 s14, v0
	v_mov_b32_e32 v5, 0
	v_readfirstlane_b32 s15, v1
	s_mov_b32 s3, exec_lo
	s_wait_loadcnt 0x0
	s_clause 0x1
	global_load_b64 v[6:7], v5, s[10:11] offset:40
	global_load_b128 v[12:15], v5, s[10:11]
	s_wait_loadcnt 0x1
	v_and_b32_e32 v6, s14, v6
	v_and_b32_e32 v7, s15, v7
	s_delay_alu instid0(VALU_DEP_1) | instskip(SKIP_1) | instid1(VALU_DEP_1)
	v_mul_u64_e32 v[0:1], 24, v[6:7]
	s_wait_loadcnt 0x0
	v_add_nc_u64_e32 v[0:1], v[12:13], v[0:1]
	s_wait_xcnt 0x0
	s_and_saveexec_b32 s9, s2
	s_cbranch_execz .LBB0_333
; %bb.332:
	v_mov_b64_e32 v[18:19], 0x100000002
	v_dual_mov_b32 v16, s3 :: v_dual_mov_b32 v17, v5
	global_store_b128 v[0:1], v[16:19], off offset:8
.LBB0_333:
	s_wait_xcnt 0x0
	s_or_b32 exec_lo, exec_lo, s9
	v_lshlrev_b64_e32 v[6:7], 12, v[6:7]
	s_mul_i32 s3, s13, s24
	s_add_co_i32 s9, s13, 1
	s_sub_co_i32 s3, s8, s3
	s_mov_b32 s16, 0
	s_sub_co_i32 s12, s3, s24
	s_cmp_ge_u32 s3, s24
	v_add_nc_u64_e32 v[14:15], v[14:15], v[6:7]
	s_cselect_b32 s9, s9, s13
	s_cselect_b32 s3, s12, s3
	s_add_co_i32 s12, s9, 1
	s_cmp_ge_u32 s3, s24
	s_mov_b32 s17, s16
	s_mov_b32 s18, s16
	;; [unrolled: 1-line block ×3, first 2 shown]
	s_cselect_b32 s3, s12, s9
	v_mov_b64_e32 v[16:17], s[16:17]
	v_mov_b64_e32 v[18:19], s[18:19]
	v_and_or_b32 v8, 0xffffff1f, v8, 32
	v_dual_mov_b32 v10, s3 :: v_dual_mov_b32 v11, v5
	v_readfirstlane_b32 s12, v14
	v_readfirstlane_b32 s13, v15
	s_clause 0x3
	global_store_b128 v4, v[8:11], s[12:13]
	global_store_b128 v4, v[16:19], s[12:13] offset:16
	global_store_b128 v4, v[16:19], s[12:13] offset:32
	;; [unrolled: 1-line block ×3, first 2 shown]
	s_wait_xcnt 0x0
	s_and_saveexec_b32 s3, s2
	s_cbranch_execz .LBB0_341
; %bb.334:
	v_dual_mov_b32 v16, 0 :: v_dual_mov_b32 v19, s15
	s_mov_b32 s9, exec_lo
	s_clause 0x1
	global_load_b64 v[20:21], v16, s[10:11] offset:32 scope:SCOPE_SYS
	global_load_b64 v[6:7], v16, s[10:11] offset:40
	s_wait_loadcnt 0x0
	v_dual_mov_b32 v18, s14 :: v_dual_bitop2_b32 v7, s15, v7 bitop3:0x40
	v_and_b32_e32 v6, s14, v6
	s_delay_alu instid0(VALU_DEP_1) | instskip(NEXT) | instid1(VALU_DEP_1)
	v_mul_u64_e32 v[6:7], 24, v[6:7]
	v_add_nc_u64_e32 v[10:11], v[12:13], v[6:7]
	global_store_b64 v[10:11], v[20:21], off
	global_wb scope:SCOPE_SYS
	s_wait_storecnt 0x0
	s_wait_xcnt 0x0
	global_atomic_cmpswap_b64 v[8:9], v16, v[18:21], s[10:11] offset:32 th:TH_ATOMIC_RETURN scope:SCOPE_SYS
	s_wait_loadcnt 0x0
	v_cmpx_ne_u64_e64 v[8:9], v[20:21]
	s_cbranch_execz .LBB0_337
; %bb.335:
	s_mov_b32 s12, 0
.LBB0_336:                              ; =>This Inner Loop Header: Depth=1
	v_dual_mov_b32 v6, s14 :: v_dual_mov_b32 v7, s15
	s_sleep 1
	global_store_b64 v[10:11], v[8:9], off
	global_wb scope:SCOPE_SYS
	s_wait_storecnt 0x0
	s_wait_xcnt 0x0
	global_atomic_cmpswap_b64 v[6:7], v16, v[6:9], s[10:11] offset:32 th:TH_ATOMIC_RETURN scope:SCOPE_SYS
	s_wait_loadcnt 0x0
	v_cmp_eq_u64_e32 vcc_lo, v[6:7], v[8:9]
	v_mov_b64_e32 v[8:9], v[6:7]
	s_or_b32 s12, vcc_lo, s12
	s_delay_alu instid0(SALU_CYCLE_1)
	s_and_not1_b32 exec_lo, exec_lo, s12
	s_cbranch_execnz .LBB0_336
.LBB0_337:
	s_or_b32 exec_lo, exec_lo, s9
	v_mov_b32_e32 v9, 0
	s_mov_b32 s12, exec_lo
	s_mov_b32 s9, exec_lo
	v_mbcnt_lo_u32_b32 v8, s12, 0
	global_load_b64 v[6:7], v9, s[10:11] offset:16
	s_wait_xcnt 0x0
	v_cmpx_eq_u32_e32 0, v8
	s_cbranch_execz .LBB0_339
; %bb.338:
	s_bcnt1_i32_b32 s12, s12
	s_delay_alu instid0(SALU_CYCLE_1)
	v_mov_b32_e32 v8, s12
	global_wb scope:SCOPE_SYS
	s_wait_loadcnt 0x0
	s_wait_storecnt 0x0
	global_atomic_add_u64 v[6:7], v[8:9], off offset:8 scope:SCOPE_SYS
.LBB0_339:
	s_wait_xcnt 0x0
	s_or_b32 exec_lo, exec_lo, s9
	s_wait_loadcnt 0x0
	global_load_b64 v[8:9], v[6:7], off offset:16
	s_wait_loadcnt 0x0
	v_cmp_eq_u64_e32 vcc_lo, 0, v[8:9]
	s_cbranch_vccnz .LBB0_341
; %bb.340:
	global_load_b32 v6, v[6:7], off offset:24
	s_wait_xcnt 0x0
	v_mov_b32_e32 v7, 0
	s_wait_loadcnt 0x0
	v_readfirstlane_b32 s9, v6
	global_wb scope:SCOPE_SYS
	s_wait_storecnt 0x0
	global_store_b64 v[8:9], v[6:7], off scope:SCOPE_SYS
	s_and_b32 m0, s9, 0xffffff
	s_sendmsg sendmsg(MSG_INTERRUPT)
.LBB0_341:
	s_wait_xcnt 0x0
	s_or_b32 exec_lo, exec_lo, s3
	v_add_nc_u64_e32 v[6:7], v[14:15], v[4:5]
	s_branch .LBB0_345
.LBB0_342:                              ;   in Loop: Header=BB0_345 Depth=1
	s_wait_xcnt 0x0
	s_or_b32 exec_lo, exec_lo, s3
	s_delay_alu instid0(VALU_DEP_1)
	v_readfirstlane_b32 s3, v5
	s_cmp_eq_u32 s3, 0
	s_cbranch_scc1 .LBB0_344
; %bb.343:                              ;   in Loop: Header=BB0_345 Depth=1
	s_sleep 1
	s_cbranch_execnz .LBB0_345
	s_branch .LBB0_347
.LBB0_344:
	s_branch .LBB0_347
.LBB0_345:                              ; =>This Inner Loop Header: Depth=1
	v_mov_b32_e32 v5, 1
	s_and_saveexec_b32 s3, s2
	s_cbranch_execz .LBB0_342
; %bb.346:                              ;   in Loop: Header=BB0_345 Depth=1
	global_load_b32 v5, v[0:1], off offset:20 scope:SCOPE_SYS
	s_wait_loadcnt 0x0
	global_inv scope:SCOPE_SYS
	v_and_b32_e32 v5, 1, v5
	s_branch .LBB0_342
.LBB0_347:
	global_load_b64 v[6:7], v[6:7], off
	s_wait_xcnt 0x0
	s_and_saveexec_b32 s9, s2
	s_cbranch_execz .LBB0_351
; %bb.348:
	v_mov_b32_e32 v5, 0
	s_clause 0x2
	global_load_b64 v[0:1], v5, s[10:11] offset:40
	global_load_b64 v[12:13], v5, s[10:11] offset:24 scope:SCOPE_SYS
	global_load_b64 v[8:9], v5, s[10:11]
	s_wait_loadcnt 0x2
	v_readfirstlane_b32 s12, v0
	v_readfirstlane_b32 s13, v1
	s_add_nc_u64 s[2:3], s[12:13], 1
	s_delay_alu instid0(SALU_CYCLE_1) | instskip(NEXT) | instid1(SALU_CYCLE_1)
	s_add_nc_u64 s[14:15], s[2:3], s[14:15]
	s_cmp_eq_u64 s[14:15], 0
	s_cselect_b32 s3, s3, s15
	s_cselect_b32 s2, s2, s14
	v_mov_b32_e32 v11, s3
	s_and_b64 s[12:13], s[2:3], s[12:13]
	v_mov_b32_e32 v10, s2
	s_mul_u64 s[12:13], s[12:13], 24
	s_wait_loadcnt 0x0
	v_add_nc_u64_e32 v[0:1], s[12:13], v[8:9]
	global_store_b64 v[0:1], v[12:13], off
	global_wb scope:SCOPE_SYS
	s_wait_storecnt 0x0
	s_wait_xcnt 0x0
	global_atomic_cmpswap_b64 v[10:11], v5, v[10:13], s[10:11] offset:24 th:TH_ATOMIC_RETURN scope:SCOPE_SYS
	s_wait_loadcnt 0x0
	v_cmp_ne_u64_e32 vcc_lo, v[10:11], v[12:13]
	s_and_b32 exec_lo, exec_lo, vcc_lo
	s_cbranch_execz .LBB0_351
; %bb.349:
	s_mov_b32 s12, 0
.LBB0_350:                              ; =>This Inner Loop Header: Depth=1
	v_dual_mov_b32 v8, s2 :: v_dual_mov_b32 v9, s3
	s_sleep 1
	global_store_b64 v[0:1], v[10:11], off
	global_wb scope:SCOPE_SYS
	s_wait_storecnt 0x0
	s_wait_xcnt 0x0
	global_atomic_cmpswap_b64 v[8:9], v5, v[8:11], s[10:11] offset:24 th:TH_ATOMIC_RETURN scope:SCOPE_SYS
	s_wait_loadcnt 0x0
	v_cmp_eq_u64_e32 vcc_lo, v[8:9], v[10:11]
	v_mov_b64_e32 v[10:11], v[8:9]
	s_or_b32 s12, vcc_lo, s12
	s_delay_alu instid0(SALU_CYCLE_1)
	s_and_not1_b32 exec_lo, exec_lo, s12
	s_cbranch_execnz .LBB0_350
.LBB0_351:
	s_or_b32 exec_lo, exec_lo, s9
	v_readfirstlane_b32 s2, v3
	v_mov_b64_e32 v[0:1], 0
	s_delay_alu instid0(VALU_DEP_2)
	v_cmp_eq_u32_e64 s2, s2, v3
	s_and_saveexec_b32 s3, s2
	s_cbranch_execz .LBB0_357
; %bb.352:
	v_mov_b32_e32 v3, 0
	s_mov_b32 s9, exec_lo
	global_load_b64 v[10:11], v3, s[10:11] offset:24 scope:SCOPE_SYS
	s_wait_loadcnt 0x0
	global_inv scope:SCOPE_SYS
	s_clause 0x1
	global_load_b64 v[0:1], v3, s[10:11] offset:40
	global_load_b64 v[8:9], v3, s[10:11]
	s_wait_loadcnt 0x1
	v_and_b32_e32 v0, v0, v10
	v_and_b32_e32 v1, v1, v11
	s_delay_alu instid0(VALU_DEP_1) | instskip(SKIP_1) | instid1(VALU_DEP_1)
	v_mul_u64_e32 v[0:1], 24, v[0:1]
	s_wait_loadcnt 0x0
	v_add_nc_u64_e32 v[0:1], v[8:9], v[0:1]
	global_load_b64 v[8:9], v[0:1], off scope:SCOPE_SYS
	s_wait_xcnt 0x0
	s_wait_loadcnt 0x0
	global_atomic_cmpswap_b64 v[0:1], v3, v[8:11], s[10:11] offset:24 th:TH_ATOMIC_RETURN scope:SCOPE_SYS
	s_wait_loadcnt 0x0
	global_inv scope:SCOPE_SYS
	s_wait_xcnt 0x0
	v_cmpx_ne_u64_e64 v[0:1], v[10:11]
	s_cbranch_execz .LBB0_356
; %bb.353:
	s_mov_b32 s12, 0
.LBB0_354:                              ; =>This Inner Loop Header: Depth=1
	s_sleep 1
	s_clause 0x1
	global_load_b64 v[8:9], v3, s[10:11] offset:40
	global_load_b64 v[12:13], v3, s[10:11]
	v_mov_b64_e32 v[10:11], v[0:1]
	s_wait_loadcnt 0x1
	s_delay_alu instid0(VALU_DEP_1) | instskip(NEXT) | instid1(VALU_DEP_2)
	v_and_b32_e32 v0, v8, v10
	v_and_b32_e32 v5, v9, v11
	s_wait_loadcnt 0x0
	s_delay_alu instid0(VALU_DEP_2) | instskip(NEXT) | instid1(VALU_DEP_1)
	v_mad_nc_u64_u32 v[0:1], v0, 24, v[12:13]
	v_mad_u32 v1, v5, 24, v1
	global_load_b64 v[8:9], v[0:1], off scope:SCOPE_SYS
	s_wait_xcnt 0x0
	s_wait_loadcnt 0x0
	global_atomic_cmpswap_b64 v[0:1], v3, v[8:11], s[10:11] offset:24 th:TH_ATOMIC_RETURN scope:SCOPE_SYS
	s_wait_loadcnt 0x0
	global_inv scope:SCOPE_SYS
	v_cmp_eq_u64_e32 vcc_lo, v[0:1], v[10:11]
	s_or_b32 s12, vcc_lo, s12
	s_wait_xcnt 0x0
	s_and_not1_b32 exec_lo, exec_lo, s12
	s_cbranch_execnz .LBB0_354
; %bb.355:
	s_or_b32 exec_lo, exec_lo, s12
.LBB0_356:
	s_delay_alu instid0(SALU_CYCLE_1)
	s_or_b32 exec_lo, exec_lo, s9
.LBB0_357:
	s_delay_alu instid0(SALU_CYCLE_1)
	s_or_b32 exec_lo, exec_lo, s3
	v_readfirstlane_b32 s12, v0
	v_mov_b32_e32 v9, 0
	v_readfirstlane_b32 s13, v1
	s_mov_b32 s3, exec_lo
	s_clause 0x1
	global_load_b64 v[14:15], v9, s[10:11] offset:40
	global_load_b128 v[10:13], v9, s[10:11]
	s_wait_loadcnt 0x1
	v_and_b32_e32 v14, s12, v14
	v_and_b32_e32 v15, s13, v15
	s_delay_alu instid0(VALU_DEP_1) | instskip(SKIP_1) | instid1(VALU_DEP_1)
	v_mul_u64_e32 v[0:1], 24, v[14:15]
	s_wait_loadcnt 0x0
	v_add_nc_u64_e32 v[0:1], v[10:11], v[0:1]
	s_wait_xcnt 0x0
	s_and_saveexec_b32 s9, s2
	s_cbranch_execz .LBB0_359
; %bb.358:
	v_mov_b32_e32 v8, s3
	v_mov_b64_e32 v[18:19], 0x100000002
	s_delay_alu instid0(VALU_DEP_2)
	v_mov_b64_e32 v[16:17], v[8:9]
	global_store_b128 v[0:1], v[16:19], off offset:8
.LBB0_359:
	s_wait_xcnt 0x0
	s_or_b32 exec_lo, exec_lo, s9
	v_lshlrev_b64_e32 v[14:15], 12, v[14:15]
	s_mov_b32 s16, 0
	v_and_or_b32 v6, 0xffffff1d, v6, 34
	s_mov_b32 s17, s16
	s_mov_b32 s18, s16
	;; [unrolled: 1-line block ×3, first 2 shown]
	v_mov_b32_e32 v8, s24
	v_add_nc_u64_e32 v[12:13], v[12:13], v[14:15]
	s_delay_alu instid0(VALU_DEP_1) | instskip(NEXT) | instid1(VALU_DEP_2)
	v_readfirstlane_b32 s14, v12
	v_readfirstlane_b32 s15, v13
	v_mov_b64_e32 v[12:13], s[16:17]
	v_mov_b64_e32 v[14:15], s[18:19]
	s_clause 0x3
	global_store_b128 v4, v[6:9], s[14:15]
	global_store_b128 v4, v[12:15], s[14:15] offset:16
	global_store_b128 v4, v[12:15], s[14:15] offset:32
	;; [unrolled: 1-line block ×3, first 2 shown]
	s_wait_xcnt 0x0
	s_and_saveexec_b32 s3, s2
	s_cbranch_execz .LBB0_367
; %bb.360:
	v_mov_b32_e32 v3, 0
	s_mov_b32 s9, exec_lo
	s_clause 0x1
	global_load_b64 v[12:13], v3, s[10:11] offset:32 scope:SCOPE_SYS
	global_load_b64 v[4:5], v3, s[10:11] offset:40
	s_wait_loadcnt 0x0
	v_and_b32_e32 v4, s12, v4
	v_and_b32_e32 v5, s13, v5
	s_delay_alu instid0(VALU_DEP_1) | instskip(NEXT) | instid1(VALU_DEP_1)
	v_mul_u64_e32 v[4:5], 24, v[4:5]
	v_add_nc_u64_e32 v[8:9], v[10:11], v[4:5]
	v_dual_mov_b32 v10, s12 :: v_dual_mov_b32 v11, s13
	global_store_b64 v[8:9], v[12:13], off
	global_wb scope:SCOPE_SYS
	s_wait_storecnt 0x0
	s_wait_xcnt 0x0
	global_atomic_cmpswap_b64 v[6:7], v3, v[10:13], s[10:11] offset:32 th:TH_ATOMIC_RETURN scope:SCOPE_SYS
	s_wait_loadcnt 0x0
	v_cmpx_ne_u64_e64 v[6:7], v[12:13]
	s_cbranch_execz .LBB0_363
; %bb.361:
	s_mov_b32 s14, 0
.LBB0_362:                              ; =>This Inner Loop Header: Depth=1
	v_dual_mov_b32 v4, s12 :: v_dual_mov_b32 v5, s13
	s_sleep 1
	global_store_b64 v[8:9], v[6:7], off
	global_wb scope:SCOPE_SYS
	s_wait_storecnt 0x0
	s_wait_xcnt 0x0
	global_atomic_cmpswap_b64 v[4:5], v3, v[4:7], s[10:11] offset:32 th:TH_ATOMIC_RETURN scope:SCOPE_SYS
	s_wait_loadcnt 0x0
	v_cmp_eq_u64_e32 vcc_lo, v[4:5], v[6:7]
	v_mov_b64_e32 v[6:7], v[4:5]
	s_or_b32 s14, vcc_lo, s14
	s_delay_alu instid0(SALU_CYCLE_1)
	s_and_not1_b32 exec_lo, exec_lo, s14
	s_cbranch_execnz .LBB0_362
.LBB0_363:
	s_or_b32 exec_lo, exec_lo, s9
	v_mov_b32_e32 v7, 0
	s_mov_b32 s14, exec_lo
	s_mov_b32 s9, exec_lo
	v_mbcnt_lo_u32_b32 v3, s14, 0
	global_load_b64 v[4:5], v7, s[10:11] offset:16
	s_wait_xcnt 0x0
	v_cmpx_eq_u32_e32 0, v3
	s_cbranch_execz .LBB0_365
; %bb.364:
	s_bcnt1_i32_b32 s14, s14
	s_delay_alu instid0(SALU_CYCLE_1)
	v_mov_b32_e32 v6, s14
	global_wb scope:SCOPE_SYS
	s_wait_loadcnt 0x0
	s_wait_storecnt 0x0
	global_atomic_add_u64 v[4:5], v[6:7], off offset:8 scope:SCOPE_SYS
.LBB0_365:
	s_wait_xcnt 0x0
	s_or_b32 exec_lo, exec_lo, s9
	s_wait_loadcnt 0x0
	global_load_b64 v[6:7], v[4:5], off offset:16
	s_wait_loadcnt 0x0
	v_cmp_eq_u64_e32 vcc_lo, 0, v[6:7]
	s_cbranch_vccnz .LBB0_367
; %bb.366:
	global_load_b32 v4, v[4:5], off offset:24
	s_wait_xcnt 0x0
	v_mov_b32_e32 v5, 0
	s_wait_loadcnt 0x0
	v_readfirstlane_b32 s9, v4
	global_wb scope:SCOPE_SYS
	s_wait_storecnt 0x0
	global_store_b64 v[6:7], v[4:5], off scope:SCOPE_SYS
	s_and_b32 m0, s9, 0xffffff
	s_sendmsg sendmsg(MSG_INTERRUPT)
.LBB0_367:
	s_wait_xcnt 0x0
	s_or_b32 exec_lo, exec_lo, s3
	s_branch .LBB0_371
.LBB0_368:                              ;   in Loop: Header=BB0_371 Depth=1
	s_wait_xcnt 0x0
	s_or_b32 exec_lo, exec_lo, s3
	s_delay_alu instid0(VALU_DEP_1)
	v_readfirstlane_b32 s3, v3
	s_cmp_eq_u32 s3, 0
	s_cbranch_scc1 .LBB0_370
; %bb.369:                              ;   in Loop: Header=BB0_371 Depth=1
	s_sleep 1
	s_cbranch_execnz .LBB0_371
	s_branch .LBB0_373
.LBB0_370:
	s_branch .LBB0_373
.LBB0_371:                              ; =>This Inner Loop Header: Depth=1
	v_mov_b32_e32 v3, 1
	s_and_saveexec_b32 s3, s2
	s_cbranch_execz .LBB0_368
; %bb.372:                              ;   in Loop: Header=BB0_371 Depth=1
	global_load_b32 v3, v[0:1], off offset:20 scope:SCOPE_SYS
	s_wait_loadcnt 0x0
	global_inv scope:SCOPE_SYS
	v_and_b32_e32 v3, 1, v3
	s_branch .LBB0_368
.LBB0_373:
	s_and_b32 exec_lo, exec_lo, s2
	s_cbranch_execz .LBB0_377
; %bb.374:
	v_mov_b32_e32 v3, 0
	s_clause 0x2
	global_load_b64 v[0:1], v3, s[10:11] offset:40
	global_load_b64 v[8:9], v3, s[10:11] offset:24 scope:SCOPE_SYS
	global_load_b64 v[4:5], v3, s[10:11]
	s_wait_loadcnt 0x2
	v_readfirstlane_b32 s14, v0
	v_readfirstlane_b32 s15, v1
	s_add_nc_u64 s[2:3], s[14:15], 1
	s_delay_alu instid0(SALU_CYCLE_1) | instskip(NEXT) | instid1(SALU_CYCLE_1)
	s_add_nc_u64 s[12:13], s[2:3], s[12:13]
	s_cmp_eq_u64 s[12:13], 0
	s_cselect_b32 s3, s3, s13
	s_cselect_b32 s2, s2, s12
	v_mov_b32_e32 v7, s3
	s_and_b64 s[12:13], s[2:3], s[14:15]
	v_mov_b32_e32 v6, s2
	s_mul_u64 s[12:13], s[12:13], 24
	s_wait_loadcnt 0x0
	v_add_nc_u64_e32 v[0:1], s[12:13], v[4:5]
	global_store_b64 v[0:1], v[8:9], off
	global_wb scope:SCOPE_SYS
	s_wait_storecnt 0x0
	s_wait_xcnt 0x0
	global_atomic_cmpswap_b64 v[6:7], v3, v[6:9], s[10:11] offset:24 th:TH_ATOMIC_RETURN scope:SCOPE_SYS
	s_wait_loadcnt 0x0
	v_cmp_ne_u64_e32 vcc_lo, v[6:7], v[8:9]
	s_and_b32 exec_lo, exec_lo, vcc_lo
	s_cbranch_execz .LBB0_377
; %bb.375:
	s_mov_b32 s9, 0
.LBB0_376:                              ; =>This Inner Loop Header: Depth=1
	v_dual_mov_b32 v4, s2 :: v_dual_mov_b32 v5, s3
	s_sleep 1
	global_store_b64 v[0:1], v[6:7], off
	global_wb scope:SCOPE_SYS
	s_wait_storecnt 0x0
	s_wait_xcnt 0x0
	global_atomic_cmpswap_b64 v[4:5], v3, v[4:7], s[10:11] offset:24 th:TH_ATOMIC_RETURN scope:SCOPE_SYS
	s_wait_loadcnt 0x0
	v_cmp_eq_u64_e32 vcc_lo, v[4:5], v[6:7]
	v_mov_b64_e32 v[6:7], v[4:5]
	s_or_b32 s9, vcc_lo, s9
	s_delay_alu instid0(SALU_CYCLE_1)
	s_and_not1_b32 exec_lo, exec_lo, s9
	s_cbranch_execnz .LBB0_376
.LBB0_377:
	s_or_b32 exec_lo, exec_lo, s25
	s_wait_kmcnt 0x0
	s_cmp_eq_u32 s24, 0
	s_wait_loadcnt 0x0
	s_wait_storecnt 0x0
	s_cselect_b32 s18, -1, 0
	s_barrier_signal -1
	s_and_b32 vcc_lo, exec_lo, s18
	s_barrier_wait -1
	s_cbranch_vccnz .LBB0_599
; %bb.378:
	s_add_co_i32 s3, s24, -1
	s_mov_b32 s18, -1
	s_and_b32 s2, s24, s3
	s_delay_alu instid0(SALU_CYCLE_1) | instskip(SKIP_3) | instid1(SALU_CYCLE_1)
	s_cmp_eq_u32 s2, 0
	s_cselect_b32 s2, -1, 0
	s_cmp_lt_u32 s24, 33
	s_cselect_b32 s9, -1, 0
	s_and_b32 s2, s9, s2
	s_delay_alu instid0(SALU_CYCLE_1)
	s_and_b32 vcc_lo, exec_lo, s2
	s_cbranch_vccz .LBB0_599
; %bb.379:
	s_cvt_f32_u32 s2, s24
	s_sub_co_i32 s9, 0, s24
	s_add_co_i32 s11, s3, s8
	v_mov_b32_e32 v38, v2
	v_rcp_iflag_f32_e32 v0, s2
	v_nop
	s_delay_alu instid0(TRANS32_DEP_1) | instskip(SKIP_1) | instid1(SALU_CYCLE_3)
	v_readfirstlane_b32 s2, v0
	s_mul_f32 s2, s2, 0x4f7ffffe
	s_cvt_u32_f32 s2, s2
	s_delay_alu instid0(SALU_CYCLE_3) | instskip(NEXT) | instid1(SALU_CYCLE_1)
	s_mul_i32 s10, s9, s2
	s_mul_hi_u32 s10, s2, s10
	s_delay_alu instid0(SALU_CYCLE_1) | instskip(NEXT) | instid1(SALU_CYCLE_1)
	s_add_co_i32 s2, s2, s10
	s_mul_hi_u32 s10, s11, s2
	s_delay_alu instid0(SALU_CYCLE_1) | instskip(NEXT) | instid1(SALU_CYCLE_1)
	s_mul_i32 s12, s10, s24
	s_sub_co_i32 s11, s11, s12
	s_add_co_i32 s12, s10, 1
	s_sub_co_i32 s13, s11, s24
	s_cmp_ge_u32 s11, s24
	s_cselect_b32 s10, s12, s10
	s_cselect_b32 s11, s13, s11
	s_add_co_i32 s12, s10, 1
	s_cmp_ge_u32 s11, s24
	s_cselect_b32 s10, s12, s10
	s_delay_alu instid0(SALU_CYCLE_1) | instskip(NEXT) | instid1(SALU_CYCLE_1)
	s_mul_i32 s10, s10, s24
	s_sub_co_i32 s11, s10, s24
	s_sub_co_i32 s8, s8, s10
	v_cmp_le_u32_e32 vcc_lo, s11, v2
	v_cndmask_b32_e64 v0, 0, s8, vcc_lo
	v_mov_b32_e32 v5, 0
	s_mov_b32 s8, exec_lo
	s_delay_alu instid0(VALU_DEP_2) | instskip(NEXT) | instid1(VALU_DEP_2)
	v_dual_add_nc_u32 v39, s24, v0 :: v_dual_bitop2_b32 v0, s3, v2 bitop3:0x40
	v_mov_b32_e32 v3, v5
	s_mov_b32 s3, 0
	s_delay_alu instid0(VALU_DEP_2)
	v_cmpx_lt_u32_e32 1, v39
	s_cbranch_execz .LBB0_385
; %bb.380:
	v_dual_mov_b32 v1, v5 :: v_dual_bitop2_b32 v6, s9, v2 bitop3:0x40
	v_dual_mov_b32 v38, v2 :: v_dual_mov_b32 v10, v39
	s_delay_alu instid0(VALU_DEP_2) | instskip(NEXT) | instid1(VALU_DEP_1)
	v_ashrrev_i32_e32 v7, 31, v6
	v_lshl_add_u64 v[6:7], v[6:7], 2, s[6:7]
	s_mov_b32 s6, s3
	s_delay_alu instid0(VALU_DEP_1)
	v_lshl_add_u64 v[8:9], v[0:1], 2, v[6:7]
	s_branch .LBB0_382
.LBB0_381:                              ;   in Loop: Header=BB0_382 Depth=1
	s_wait_xcnt 0x0
	s_or_b32 exec_lo, exec_lo, s7
	v_cmp_gt_u32_e32 vcc_lo, 4, v10
	v_mov_b32_e32 v10, v1
	global_wb scope:SCOPE_DEV
	s_wait_loadcnt 0x0
	s_wait_storecnt 0x0
	global_inv scope:SCOPE_DEV
	s_or_b32 s6, vcc_lo, s6
	s_delay_alu instid0(SALU_CYCLE_1)
	s_and_not1_b32 exec_lo, exec_lo, s6
	s_cbranch_execz .LBB0_384
.LBB0_382:                              ; =>This Inner Loop Header: Depth=1
	v_lshrrev_b32_e32 v1, 1, v10
	s_mov_b32 s7, exec_lo
	flat_store_b32 v[8:9], v38
	global_wb scope:SCOPE_DEV
	s_wait_storecnt_dscnt 0x0
	global_inv scope:SCOPE_DEV
	s_wait_xcnt 0x0
	v_cmpx_lt_i32_e64 v0, v1
	s_cbranch_execz .LBB0_381
; %bb.383:                              ;   in Loop: Header=BB0_382 Depth=1
	v_add_nc_u32_e32 v4, v1, v0
	s_delay_alu instid0(VALU_DEP_1)
	v_lshl_add_u64 v[12:13], v[4:5], 2, v[6:7]
	flat_load_b32 v4, v[12:13]
	s_wait_loadcnt_dscnt 0x0
	v_add_nc_u32_e32 v38, v4, v38
	s_branch .LBB0_381
.LBB0_384:
	s_or_b32 exec_lo, exec_lo, s6
.LBB0_385:
	s_delay_alu instid0(SALU_CYCLE_1)
	s_or_b32 exec_lo, exec_lo, s8
	v_mul_u64_e32 v[32:33], s[2:3], v[2:3]
	v_cmp_eq_u32_e64 s2, 0, v0
	s_mov_b32 s18, 0
	s_and_saveexec_b32 s19, s2
	s_cbranch_execz .LBB0_598
; %bb.386:
	s_load_b64 s[4:5], s[4:5], 0x50
	v_mbcnt_lo_u32_b32 v32, -1, 0
	v_mov_b64_e32 v[0:1], 0
	s_delay_alu instid0(VALU_DEP_2) | instskip(NEXT) | instid1(VALU_DEP_1)
	v_readfirstlane_b32 s3, v32
	v_cmp_eq_u32_e64 s3, s3, v32
	s_and_saveexec_b32 s6, s3
	s_cbranch_execz .LBB0_392
; %bb.387:
	v_mov_b32_e32 v4, 0
	s_mov_b32 s7, exec_lo
	s_wait_kmcnt 0x0
	global_load_b64 v[8:9], v4, s[4:5] offset:24 scope:SCOPE_SYS
	s_wait_loadcnt 0x0
	global_inv scope:SCOPE_SYS
	s_clause 0x1
	global_load_b64 v[0:1], v4, s[4:5] offset:40
	global_load_b64 v[6:7], v4, s[4:5]
	s_wait_loadcnt 0x1
	v_and_b32_e32 v0, v0, v8
	v_and_b32_e32 v1, v1, v9
	s_delay_alu instid0(VALU_DEP_1) | instskip(SKIP_1) | instid1(VALU_DEP_1)
	v_mul_u64_e32 v[0:1], 24, v[0:1]
	s_wait_loadcnt 0x0
	v_add_nc_u64_e32 v[0:1], v[6:7], v[0:1]
	global_load_b64 v[6:7], v[0:1], off scope:SCOPE_SYS
	s_wait_xcnt 0x0
	s_wait_loadcnt 0x0
	global_atomic_cmpswap_b64 v[0:1], v4, v[6:9], s[4:5] offset:24 th:TH_ATOMIC_RETURN scope:SCOPE_SYS
	s_wait_loadcnt 0x0
	global_inv scope:SCOPE_SYS
	s_wait_xcnt 0x0
	v_cmpx_ne_u64_e64 v[0:1], v[8:9]
	s_cbranch_execz .LBB0_391
; %bb.388:
	s_mov_b32 s8, 0
.LBB0_389:                              ; =>This Inner Loop Header: Depth=1
	s_sleep 1
	s_clause 0x1
	global_load_b64 v[6:7], v4, s[4:5] offset:40
	global_load_b64 v[10:11], v4, s[4:5]
	v_mov_b64_e32 v[8:9], v[0:1]
	s_wait_loadcnt 0x1
	s_delay_alu instid0(VALU_DEP_1) | instskip(NEXT) | instid1(VALU_DEP_2)
	v_and_b32_e32 v0, v6, v8
	v_and_b32_e32 v5, v7, v9
	s_wait_loadcnt 0x0
	s_delay_alu instid0(VALU_DEP_2) | instskip(NEXT) | instid1(VALU_DEP_1)
	v_mad_nc_u64_u32 v[0:1], v0, 24, v[10:11]
	v_mad_u32 v1, v5, 24, v1
	global_load_b64 v[6:7], v[0:1], off scope:SCOPE_SYS
	s_wait_xcnt 0x0
	s_wait_loadcnt 0x0
	global_atomic_cmpswap_b64 v[0:1], v4, v[6:9], s[4:5] offset:24 th:TH_ATOMIC_RETURN scope:SCOPE_SYS
	s_wait_loadcnt 0x0
	global_inv scope:SCOPE_SYS
	v_cmp_eq_u64_e32 vcc_lo, v[0:1], v[8:9]
	s_or_b32 s8, vcc_lo, s8
	s_wait_xcnt 0x0
	s_and_not1_b32 exec_lo, exec_lo, s8
	s_cbranch_execnz .LBB0_389
; %bb.390:
	s_or_b32 exec_lo, exec_lo, s8
.LBB0_391:
	s_delay_alu instid0(SALU_CYCLE_1)
	s_or_b32 exec_lo, exec_lo, s7
.LBB0_392:
	s_delay_alu instid0(SALU_CYCLE_1)
	s_or_b32 exec_lo, exec_lo, s6
	v_readfirstlane_b32 s6, v0
	v_mov_b32_e32 v5, 0
	v_readfirstlane_b32 s7, v1
	s_mov_b32 s8, exec_lo
	s_wait_kmcnt 0x0
	s_clause 0x1
	global_load_b64 v[6:7], v5, s[4:5] offset:40
	global_load_b128 v[8:11], v5, s[4:5]
	s_wait_loadcnt 0x1
	v_and_b32_e32 v12, s6, v6
	v_and_b32_e32 v13, s7, v7
	s_delay_alu instid0(VALU_DEP_1) | instskip(SKIP_1) | instid1(VALU_DEP_1)
	v_mul_u64_e32 v[0:1], 24, v[12:13]
	s_wait_loadcnt 0x0
	v_add_nc_u64_e32 v[0:1], v[8:9], v[0:1]
	s_and_saveexec_b32 s9, s3
	s_cbranch_execz .LBB0_394
; %bb.393:
	v_mov_b64_e32 v[6:7], 0x100000002
	v_mov_b32_e32 v4, s8
	global_store_b128 v[0:1], v[4:7], off offset:8
.LBB0_394:
	s_wait_xcnt 0x0
	s_or_b32 exec_lo, exec_lo, s9
	v_lshlrev_b64_e32 v[6:7], 12, v[12:13]
	s_mov_b32 s8, 0
	v_dual_lshlrev_b32 v4, 6, v32 :: v_dual_mov_b32 v12, 33
	s_mov_b32 s10, s8
	s_mov_b32 s11, s8
	;; [unrolled: 1-line block ×3, first 2 shown]
	s_delay_alu instid0(VALU_DEP_2)
	v_add_nc_u64_e32 v[10:11], v[10:11], v[6:7]
	v_mov_b64_e32 v[18:19], s[10:11]
	v_mov_b64_e32 v[16:17], s[8:9]
	v_dual_mov_b32 v13, v5 :: v_dual_mov_b32 v14, v5
	v_mov_b32_e32 v15, v5
	v_readfirstlane_b32 s12, v10
	v_readfirstlane_b32 s13, v11
	s_clause 0x3
	global_store_b128 v4, v[12:15], s[12:13]
	global_store_b128 v4, v[16:19], s[12:13] offset:16
	global_store_b128 v4, v[16:19], s[12:13] offset:32
	;; [unrolled: 1-line block ×3, first 2 shown]
	s_wait_xcnt 0x0
	s_and_saveexec_b32 s8, s3
	s_cbranch_execz .LBB0_402
; %bb.395:
	v_dual_mov_b32 v14, 0 :: v_dual_mov_b32 v17, s7
	s_mov_b32 s9, exec_lo
	s_clause 0x1
	global_load_b64 v[18:19], v14, s[4:5] offset:32 scope:SCOPE_SYS
	global_load_b64 v[6:7], v14, s[4:5] offset:40
	s_wait_loadcnt 0x0
	v_dual_mov_b32 v16, s6 :: v_dual_bitop2_b32 v7, s7, v7 bitop3:0x40
	v_and_b32_e32 v6, s6, v6
	s_delay_alu instid0(VALU_DEP_1) | instskip(NEXT) | instid1(VALU_DEP_1)
	v_mul_u64_e32 v[6:7], 24, v[6:7]
	v_add_nc_u64_e32 v[12:13], v[8:9], v[6:7]
	global_store_b64 v[12:13], v[18:19], off
	global_wb scope:SCOPE_SYS
	s_wait_storecnt 0x0
	s_wait_xcnt 0x0
	global_atomic_cmpswap_b64 v[8:9], v14, v[16:19], s[4:5] offset:32 th:TH_ATOMIC_RETURN scope:SCOPE_SYS
	s_wait_loadcnt 0x0
	v_cmpx_ne_u64_e64 v[8:9], v[18:19]
	s_cbranch_execz .LBB0_398
; %bb.396:
	s_mov_b32 s10, 0
.LBB0_397:                              ; =>This Inner Loop Header: Depth=1
	v_dual_mov_b32 v6, s6 :: v_dual_mov_b32 v7, s7
	s_sleep 1
	global_store_b64 v[12:13], v[8:9], off
	global_wb scope:SCOPE_SYS
	s_wait_storecnt 0x0
	s_wait_xcnt 0x0
	global_atomic_cmpswap_b64 v[6:7], v14, v[6:9], s[4:5] offset:32 th:TH_ATOMIC_RETURN scope:SCOPE_SYS
	s_wait_loadcnt 0x0
	v_cmp_eq_u64_e32 vcc_lo, v[6:7], v[8:9]
	v_mov_b64_e32 v[8:9], v[6:7]
	s_or_b32 s10, vcc_lo, s10
	s_delay_alu instid0(SALU_CYCLE_1)
	s_and_not1_b32 exec_lo, exec_lo, s10
	s_cbranch_execnz .LBB0_397
.LBB0_398:
	s_or_b32 exec_lo, exec_lo, s9
	v_mov_b32_e32 v9, 0
	s_mov_b32 s10, exec_lo
	s_mov_b32 s9, exec_lo
	v_mbcnt_lo_u32_b32 v8, s10, 0
	global_load_b64 v[6:7], v9, s[4:5] offset:16
	s_wait_xcnt 0x0
	v_cmpx_eq_u32_e32 0, v8
	s_cbranch_execz .LBB0_400
; %bb.399:
	s_bcnt1_i32_b32 s10, s10
	s_delay_alu instid0(SALU_CYCLE_1)
	v_mov_b32_e32 v8, s10
	global_wb scope:SCOPE_SYS
	s_wait_loadcnt 0x0
	s_wait_storecnt 0x0
	global_atomic_add_u64 v[6:7], v[8:9], off offset:8 scope:SCOPE_SYS
.LBB0_400:
	s_wait_xcnt 0x0
	s_or_b32 exec_lo, exec_lo, s9
	s_wait_loadcnt 0x0
	global_load_b64 v[8:9], v[6:7], off offset:16
	s_wait_loadcnt 0x0
	v_cmp_eq_u64_e32 vcc_lo, 0, v[8:9]
	s_cbranch_vccnz .LBB0_402
; %bb.401:
	global_load_b32 v6, v[6:7], off offset:24
	s_wait_xcnt 0x0
	v_mov_b32_e32 v7, 0
	s_wait_loadcnt 0x0
	v_readfirstlane_b32 s9, v6
	global_wb scope:SCOPE_SYS
	s_wait_storecnt 0x0
	global_store_b64 v[8:9], v[6:7], off scope:SCOPE_SYS
	s_and_b32 m0, s9, 0xffffff
	s_sendmsg sendmsg(MSG_INTERRUPT)
.LBB0_402:
	s_wait_xcnt 0x0
	s_or_b32 exec_lo, exec_lo, s8
	v_add_nc_u64_e32 v[6:7], v[10:11], v[4:5]
	s_branch .LBB0_406
.LBB0_403:                              ;   in Loop: Header=BB0_406 Depth=1
	s_wait_xcnt 0x0
	s_or_b32 exec_lo, exec_lo, s8
	s_delay_alu instid0(VALU_DEP_1)
	v_readfirstlane_b32 s8, v5
	s_cmp_eq_u32 s8, 0
	s_cbranch_scc1 .LBB0_405
; %bb.404:                              ;   in Loop: Header=BB0_406 Depth=1
	s_sleep 1
	s_cbranch_execnz .LBB0_406
	s_branch .LBB0_408
.LBB0_405:
	s_branch .LBB0_408
.LBB0_406:                              ; =>This Inner Loop Header: Depth=1
	v_mov_b32_e32 v5, 1
	s_and_saveexec_b32 s8, s3
	s_cbranch_execz .LBB0_403
; %bb.407:                              ;   in Loop: Header=BB0_406 Depth=1
	global_load_b32 v5, v[0:1], off offset:20 scope:SCOPE_SYS
	s_wait_loadcnt 0x0
	global_inv scope:SCOPE_SYS
	v_and_b32_e32 v5, 1, v5
	s_branch .LBB0_403
.LBB0_408:
	global_load_b64 v[6:7], v[6:7], off
	s_wait_xcnt 0x0
	s_and_saveexec_b32 s8, s3
	s_cbranch_execz .LBB0_412
; %bb.409:
	v_mov_b32_e32 v5, 0
	s_clause 0x2
	global_load_b64 v[0:1], v5, s[4:5] offset:40
	global_load_b64 v[12:13], v5, s[4:5] offset:24 scope:SCOPE_SYS
	global_load_b64 v[8:9], v5, s[4:5]
	s_wait_loadcnt 0x2
	v_readfirstlane_b32 s10, v0
	v_readfirstlane_b32 s11, v1
	s_add_nc_u64 s[12:13], s[10:11], 1
	s_delay_alu instid0(SALU_CYCLE_1) | instskip(NEXT) | instid1(SALU_CYCLE_1)
	s_add_nc_u64 s[6:7], s[12:13], s[6:7]
	s_cmp_eq_u64 s[6:7], 0
	s_cselect_b32 s7, s13, s7
	s_cselect_b32 s6, s12, s6
	v_mov_b32_e32 v11, s7
	s_and_b64 s[10:11], s[6:7], s[10:11]
	v_mov_b32_e32 v10, s6
	s_mul_u64 s[10:11], s[10:11], 24
	s_wait_loadcnt 0x0
	v_add_nc_u64_e32 v[0:1], s[10:11], v[8:9]
	global_store_b64 v[0:1], v[12:13], off
	global_wb scope:SCOPE_SYS
	s_wait_storecnt 0x0
	s_wait_xcnt 0x0
	global_atomic_cmpswap_b64 v[10:11], v5, v[10:13], s[4:5] offset:24 th:TH_ATOMIC_RETURN scope:SCOPE_SYS
	s_wait_loadcnt 0x0
	v_cmp_ne_u64_e32 vcc_lo, v[10:11], v[12:13]
	s_and_b32 exec_lo, exec_lo, vcc_lo
	s_cbranch_execz .LBB0_412
; %bb.410:
	s_mov_b32 s3, 0
.LBB0_411:                              ; =>This Inner Loop Header: Depth=1
	v_dual_mov_b32 v8, s6 :: v_dual_mov_b32 v9, s7
	s_sleep 1
	global_store_b64 v[0:1], v[10:11], off
	global_wb scope:SCOPE_SYS
	s_wait_storecnt 0x0
	s_wait_xcnt 0x0
	global_atomic_cmpswap_b64 v[8:9], v5, v[8:11], s[4:5] offset:24 th:TH_ATOMIC_RETURN scope:SCOPE_SYS
	s_wait_loadcnt 0x0
	v_cmp_eq_u64_e32 vcc_lo, v[8:9], v[10:11]
	v_mov_b64_e32 v[10:11], v[8:9]
	s_or_b32 s3, vcc_lo, s3
	s_delay_alu instid0(SALU_CYCLE_1)
	s_and_not1_b32 exec_lo, exec_lo, s3
	s_cbranch_execnz .LBB0_411
.LBB0_412:
	s_or_b32 exec_lo, exec_lo, s8
	s_get_pc_i64 s[6:7]
	s_add_nc_u64 s[6:7], s[6:7], .str.2@rel64+4
	s_delay_alu instid0(SALU_CYCLE_1)
	s_cmp_lg_u64 s[6:7], 0
	s_cbranch_scc0 .LBB0_491
; %bb.413:
	v_mov_b64_e32 v[14:15], 0x100000002
	s_wait_loadcnt 0x0
	v_dual_mov_b32 v13, 0 :: v_dual_bitop2_b32 v0, 2, v6 bitop3:0x40
	v_dual_mov_b32 v9, v7 :: v_dual_bitop2_b32 v8, -3, v6 bitop3:0x40
	s_mov_b64 s[8:9], 0x64
	s_branch .LBB0_415
.LBB0_414:                              ;   in Loop: Header=BB0_415 Depth=1
	s_or_b32 exec_lo, exec_lo, s14
	s_sub_nc_u64 s[8:9], s[8:9], s[10:11]
	s_add_nc_u64 s[6:7], s[6:7], s[10:11]
	s_cmp_lg_u64 s[8:9], 0
	s_cbranch_scc0 .LBB0_490
.LBB0_415:                              ; =>This Loop Header: Depth=1
                                        ;     Child Loop BB0_418 Depth 2
                                        ;     Child Loop BB0_425 Depth 2
	;; [unrolled: 1-line block ×11, first 2 shown]
	v_min_u64 v[10:11], s[8:9], 56
	v_cmp_gt_u64_e64 s3, s[8:9], 7
	s_and_b32 vcc_lo, exec_lo, s3
	v_readfirstlane_b32 s10, v10
	v_readfirstlane_b32 s11, v11
	s_cbranch_vccnz .LBB0_420
; %bb.416:                              ;   in Loop: Header=BB0_415 Depth=1
	v_mov_b64_e32 v[10:11], 0
	s_cmp_eq_u64 s[8:9], 0
	s_cbranch_scc1 .LBB0_419
; %bb.417:                              ;   in Loop: Header=BB0_415 Depth=1
	s_mov_b64 s[12:13], 0
	s_mov_b64 s[14:15], 0
.LBB0_418:                              ;   Parent Loop BB0_415 Depth=1
                                        ; =>  This Inner Loop Header: Depth=2
	s_wait_xcnt 0x0
	s_add_nc_u64 s[16:17], s[6:7], s[14:15]
	s_add_nc_u64 s[14:15], s[14:15], 1
	global_load_u8 v1, v13, s[16:17]
	s_cmp_lg_u32 s10, s14
	s_wait_loadcnt 0x0
	v_and_b32_e32 v12, 0xffff, v1
	s_delay_alu instid0(VALU_DEP_1) | instskip(SKIP_1) | instid1(VALU_DEP_1)
	v_lshlrev_b64_e32 v[16:17], s12, v[12:13]
	s_add_nc_u64 s[12:13], s[12:13], 8
	v_or_b32_e32 v10, v16, v10
	s_delay_alu instid0(VALU_DEP_2)
	v_or_b32_e32 v11, v17, v11
	s_cbranch_scc1 .LBB0_418
.LBB0_419:                              ;   in Loop: Header=BB0_415 Depth=1
	s_mov_b64 s[14:15], s[6:7]
	s_mov_b32 s3, 0
	s_cbranch_execz .LBB0_421
	s_branch .LBB0_422
.LBB0_420:                              ;   in Loop: Header=BB0_415 Depth=1
	s_add_nc_u64 s[14:15], s[6:7], 8
	s_mov_b32 s3, 0
.LBB0_421:                              ;   in Loop: Header=BB0_415 Depth=1
	global_load_b64 v[10:11], v13, s[6:7]
	s_add_co_i32 s3, s10, -8
.LBB0_422:                              ;   in Loop: Header=BB0_415 Depth=1
	s_delay_alu instid0(SALU_CYCLE_1)
	s_cmp_gt_u32 s3, 7
	s_cbranch_scc1 .LBB0_427
; %bb.423:                              ;   in Loop: Header=BB0_415 Depth=1
	v_mov_b64_e32 v[16:17], 0
	s_cmp_eq_u32 s3, 0
	s_cbranch_scc1 .LBB0_426
; %bb.424:                              ;   in Loop: Header=BB0_415 Depth=1
	s_mov_b64 s[12:13], 0
	s_wait_xcnt 0x0
	s_mov_b64 s[16:17], 0
.LBB0_425:                              ;   Parent Loop BB0_415 Depth=1
                                        ; =>  This Inner Loop Header: Depth=2
	s_wait_xcnt 0x0
	s_add_nc_u64 s[20:21], s[14:15], s[16:17]
	s_add_nc_u64 s[16:17], s[16:17], 1
	global_load_u8 v1, v13, s[20:21]
	s_cmp_lg_u32 s3, s16
	s_wait_loadcnt 0x0
	v_and_b32_e32 v12, 0xffff, v1
	s_delay_alu instid0(VALU_DEP_1) | instskip(SKIP_1) | instid1(VALU_DEP_1)
	v_lshlrev_b64_e32 v[18:19], s12, v[12:13]
	s_add_nc_u64 s[12:13], s[12:13], 8
	v_or_b32_e32 v16, v18, v16
	s_delay_alu instid0(VALU_DEP_2)
	v_or_b32_e32 v17, v19, v17
	s_cbranch_scc1 .LBB0_425
.LBB0_426:                              ;   in Loop: Header=BB0_415 Depth=1
	s_wait_xcnt 0x0
	s_mov_b64 s[12:13], s[14:15]
	s_mov_b32 s20, 0
	s_cbranch_execz .LBB0_428
	s_branch .LBB0_429
.LBB0_427:                              ;   in Loop: Header=BB0_415 Depth=1
	s_add_nc_u64 s[12:13], s[14:15], 8
	s_wait_xcnt 0x0
                                        ; implicit-def: $vgpr16_vgpr17
	s_mov_b32 s20, 0
.LBB0_428:                              ;   in Loop: Header=BB0_415 Depth=1
	global_load_b64 v[16:17], v13, s[14:15]
	s_add_co_i32 s20, s3, -8
.LBB0_429:                              ;   in Loop: Header=BB0_415 Depth=1
	s_delay_alu instid0(SALU_CYCLE_1)
	s_cmp_gt_u32 s20, 7
	s_cbranch_scc1 .LBB0_434
; %bb.430:                              ;   in Loop: Header=BB0_415 Depth=1
	v_mov_b64_e32 v[18:19], 0
	s_cmp_eq_u32 s20, 0
	s_cbranch_scc1 .LBB0_433
; %bb.431:                              ;   in Loop: Header=BB0_415 Depth=1
	s_wait_xcnt 0x0
	s_mov_b64 s[14:15], 0
	s_mov_b64 s[16:17], 0
.LBB0_432:                              ;   Parent Loop BB0_415 Depth=1
                                        ; =>  This Inner Loop Header: Depth=2
	s_wait_xcnt 0x0
	s_add_nc_u64 s[22:23], s[12:13], s[16:17]
	s_add_nc_u64 s[16:17], s[16:17], 1
	global_load_u8 v1, v13, s[22:23]
	s_cmp_lg_u32 s20, s16
	s_wait_loadcnt 0x0
	v_and_b32_e32 v12, 0xffff, v1
	s_delay_alu instid0(VALU_DEP_1) | instskip(SKIP_1) | instid1(VALU_DEP_1)
	v_lshlrev_b64_e32 v[20:21], s14, v[12:13]
	s_add_nc_u64 s[14:15], s[14:15], 8
	v_or_b32_e32 v18, v20, v18
	s_delay_alu instid0(VALU_DEP_2)
	v_or_b32_e32 v19, v21, v19
	s_cbranch_scc1 .LBB0_432
.LBB0_433:                              ;   in Loop: Header=BB0_415 Depth=1
	s_wait_xcnt 0x0
	s_mov_b64 s[14:15], s[12:13]
	s_mov_b32 s3, 0
	s_cbranch_execz .LBB0_435
	s_branch .LBB0_436
.LBB0_434:                              ;   in Loop: Header=BB0_415 Depth=1
	s_wait_xcnt 0x0
	s_add_nc_u64 s[14:15], s[12:13], 8
	s_mov_b32 s3, 0
.LBB0_435:                              ;   in Loop: Header=BB0_415 Depth=1
	global_load_b64 v[18:19], v13, s[12:13]
	s_add_co_i32 s3, s20, -8
.LBB0_436:                              ;   in Loop: Header=BB0_415 Depth=1
	s_delay_alu instid0(SALU_CYCLE_1)
	s_cmp_gt_u32 s3, 7
	s_cbranch_scc1 .LBB0_441
; %bb.437:                              ;   in Loop: Header=BB0_415 Depth=1
	v_mov_b64_e32 v[20:21], 0
	s_cmp_eq_u32 s3, 0
	s_cbranch_scc1 .LBB0_440
; %bb.438:                              ;   in Loop: Header=BB0_415 Depth=1
	s_wait_xcnt 0x0
	s_mov_b64 s[12:13], 0
	s_mov_b64 s[16:17], 0
.LBB0_439:                              ;   Parent Loop BB0_415 Depth=1
                                        ; =>  This Inner Loop Header: Depth=2
	s_wait_xcnt 0x0
	s_add_nc_u64 s[20:21], s[14:15], s[16:17]
	s_add_nc_u64 s[16:17], s[16:17], 1
	global_load_u8 v1, v13, s[20:21]
	s_cmp_lg_u32 s3, s16
	s_wait_loadcnt 0x0
	v_and_b32_e32 v12, 0xffff, v1
	s_delay_alu instid0(VALU_DEP_1) | instskip(SKIP_1) | instid1(VALU_DEP_1)
	v_lshlrev_b64_e32 v[22:23], s12, v[12:13]
	s_add_nc_u64 s[12:13], s[12:13], 8
	v_or_b32_e32 v20, v22, v20
	s_delay_alu instid0(VALU_DEP_2)
	v_or_b32_e32 v21, v23, v21
	s_cbranch_scc1 .LBB0_439
.LBB0_440:                              ;   in Loop: Header=BB0_415 Depth=1
	s_wait_xcnt 0x0
	s_mov_b64 s[12:13], s[14:15]
	s_mov_b32 s20, 0
	s_cbranch_execz .LBB0_442
	s_branch .LBB0_443
.LBB0_441:                              ;   in Loop: Header=BB0_415 Depth=1
	s_wait_xcnt 0x0
	s_add_nc_u64 s[12:13], s[14:15], 8
                                        ; implicit-def: $vgpr20_vgpr21
	s_mov_b32 s20, 0
.LBB0_442:                              ;   in Loop: Header=BB0_415 Depth=1
	global_load_b64 v[20:21], v13, s[14:15]
	s_add_co_i32 s20, s3, -8
.LBB0_443:                              ;   in Loop: Header=BB0_415 Depth=1
	s_delay_alu instid0(SALU_CYCLE_1)
	s_cmp_gt_u32 s20, 7
	s_cbranch_scc1 .LBB0_448
; %bb.444:                              ;   in Loop: Header=BB0_415 Depth=1
	v_mov_b64_e32 v[22:23], 0
	s_cmp_eq_u32 s20, 0
	s_cbranch_scc1 .LBB0_447
; %bb.445:                              ;   in Loop: Header=BB0_415 Depth=1
	s_wait_xcnt 0x0
	s_mov_b64 s[14:15], 0
	s_mov_b64 s[16:17], 0
.LBB0_446:                              ;   Parent Loop BB0_415 Depth=1
                                        ; =>  This Inner Loop Header: Depth=2
	s_wait_xcnt 0x0
	s_add_nc_u64 s[22:23], s[12:13], s[16:17]
	s_add_nc_u64 s[16:17], s[16:17], 1
	global_load_u8 v1, v13, s[22:23]
	s_cmp_lg_u32 s20, s16
	s_wait_loadcnt 0x0
	v_and_b32_e32 v12, 0xffff, v1
	s_delay_alu instid0(VALU_DEP_1) | instskip(SKIP_1) | instid1(VALU_DEP_1)
	v_lshlrev_b64_e32 v[24:25], s14, v[12:13]
	s_add_nc_u64 s[14:15], s[14:15], 8
	v_or_b32_e32 v22, v24, v22
	s_delay_alu instid0(VALU_DEP_2)
	v_or_b32_e32 v23, v25, v23
	s_cbranch_scc1 .LBB0_446
.LBB0_447:                              ;   in Loop: Header=BB0_415 Depth=1
	s_wait_xcnt 0x0
	s_mov_b64 s[14:15], s[12:13]
	s_mov_b32 s3, 0
	s_cbranch_execz .LBB0_449
	s_branch .LBB0_450
.LBB0_448:                              ;   in Loop: Header=BB0_415 Depth=1
	s_wait_xcnt 0x0
	s_add_nc_u64 s[14:15], s[12:13], 8
	s_mov_b32 s3, 0
.LBB0_449:                              ;   in Loop: Header=BB0_415 Depth=1
	global_load_b64 v[22:23], v13, s[12:13]
	s_add_co_i32 s3, s20, -8
.LBB0_450:                              ;   in Loop: Header=BB0_415 Depth=1
	s_delay_alu instid0(SALU_CYCLE_1)
	s_cmp_gt_u32 s3, 7
	s_cbranch_scc1 .LBB0_455
; %bb.451:                              ;   in Loop: Header=BB0_415 Depth=1
	v_mov_b64_e32 v[24:25], 0
	s_cmp_eq_u32 s3, 0
	s_cbranch_scc1 .LBB0_454
; %bb.452:                              ;   in Loop: Header=BB0_415 Depth=1
	s_wait_xcnt 0x0
	s_mov_b64 s[12:13], 0
	s_mov_b64 s[16:17], 0
.LBB0_453:                              ;   Parent Loop BB0_415 Depth=1
                                        ; =>  This Inner Loop Header: Depth=2
	s_wait_xcnt 0x0
	s_add_nc_u64 s[20:21], s[14:15], s[16:17]
	s_add_nc_u64 s[16:17], s[16:17], 1
	global_load_u8 v1, v13, s[20:21]
	s_cmp_lg_u32 s3, s16
	s_wait_loadcnt 0x0
	v_and_b32_e32 v12, 0xffff, v1
	s_delay_alu instid0(VALU_DEP_1) | instskip(SKIP_1) | instid1(VALU_DEP_1)
	v_lshlrev_b64_e32 v[26:27], s12, v[12:13]
	s_add_nc_u64 s[12:13], s[12:13], 8
	v_or_b32_e32 v24, v26, v24
	s_delay_alu instid0(VALU_DEP_2)
	v_or_b32_e32 v25, v27, v25
	s_cbranch_scc1 .LBB0_453
.LBB0_454:                              ;   in Loop: Header=BB0_415 Depth=1
	s_wait_xcnt 0x0
	s_mov_b64 s[12:13], s[14:15]
	s_mov_b32 s20, 0
	s_cbranch_execz .LBB0_456
	s_branch .LBB0_457
.LBB0_455:                              ;   in Loop: Header=BB0_415 Depth=1
	s_wait_xcnt 0x0
	s_add_nc_u64 s[12:13], s[14:15], 8
                                        ; implicit-def: $vgpr24_vgpr25
	s_mov_b32 s20, 0
.LBB0_456:                              ;   in Loop: Header=BB0_415 Depth=1
	global_load_b64 v[24:25], v13, s[14:15]
	s_add_co_i32 s20, s3, -8
.LBB0_457:                              ;   in Loop: Header=BB0_415 Depth=1
	s_delay_alu instid0(SALU_CYCLE_1)
	s_cmp_gt_u32 s20, 7
	s_cbranch_scc1 .LBB0_462
; %bb.458:                              ;   in Loop: Header=BB0_415 Depth=1
	v_mov_b64_e32 v[26:27], 0
	s_cmp_eq_u32 s20, 0
	s_cbranch_scc1 .LBB0_461
; %bb.459:                              ;   in Loop: Header=BB0_415 Depth=1
	s_wait_xcnt 0x0
	s_mov_b64 s[14:15], 0
	s_mov_b64 s[16:17], s[12:13]
.LBB0_460:                              ;   Parent Loop BB0_415 Depth=1
                                        ; =>  This Inner Loop Header: Depth=2
	global_load_u8 v1, v13, s[16:17]
	s_add_co_i32 s20, s20, -1
	s_wait_xcnt 0x0
	s_add_nc_u64 s[16:17], s[16:17], 1
	s_cmp_lg_u32 s20, 0
	s_wait_loadcnt 0x0
	v_and_b32_e32 v12, 0xffff, v1
	s_delay_alu instid0(VALU_DEP_1) | instskip(SKIP_1) | instid1(VALU_DEP_1)
	v_lshlrev_b64_e32 v[28:29], s14, v[12:13]
	s_add_nc_u64 s[14:15], s[14:15], 8
	v_or_b32_e32 v26, v28, v26
	s_delay_alu instid0(VALU_DEP_2)
	v_or_b32_e32 v27, v29, v27
	s_cbranch_scc1 .LBB0_460
.LBB0_461:                              ;   in Loop: Header=BB0_415 Depth=1
	s_cbranch_execz .LBB0_463
	s_branch .LBB0_464
.LBB0_462:                              ;   in Loop: Header=BB0_415 Depth=1
.LBB0_463:                              ;   in Loop: Header=BB0_415 Depth=1
	global_load_b64 v[26:27], v13, s[12:13]
.LBB0_464:                              ;   in Loop: Header=BB0_415 Depth=1
	v_readfirstlane_b32 s3, v32
	v_mov_b64_e32 v[34:35], 0
	s_delay_alu instid0(VALU_DEP_2)
	v_cmp_eq_u32_e64 s3, s3, v32
	s_wait_xcnt 0x0
	s_and_saveexec_b32 s12, s3
	s_cbranch_execz .LBB0_470
; %bb.465:                              ;   in Loop: Header=BB0_415 Depth=1
	global_load_b64 v[30:31], v13, s[4:5] offset:24 scope:SCOPE_SYS
	s_wait_loadcnt 0x0
	global_inv scope:SCOPE_SYS
	s_clause 0x1
	global_load_b64 v[28:29], v13, s[4:5] offset:40
	global_load_b64 v[34:35], v13, s[4:5]
	s_mov_b32 s13, exec_lo
	s_wait_loadcnt 0x1
	v_and_b32_e32 v28, v28, v30
	v_and_b32_e32 v29, v29, v31
	s_delay_alu instid0(VALU_DEP_1) | instskip(SKIP_1) | instid1(VALU_DEP_1)
	v_mul_u64_e32 v[28:29], 24, v[28:29]
	s_wait_loadcnt 0x0
	v_add_nc_u64_e32 v[28:29], v[34:35], v[28:29]
	global_load_b64 v[28:29], v[28:29], off scope:SCOPE_SYS
	s_wait_xcnt 0x0
	s_wait_loadcnt 0x0
	global_atomic_cmpswap_b64 v[34:35], v13, v[28:31], s[4:5] offset:24 th:TH_ATOMIC_RETURN scope:SCOPE_SYS
	s_wait_loadcnt 0x0
	global_inv scope:SCOPE_SYS
	s_wait_xcnt 0x0
	v_cmpx_ne_u64_e64 v[34:35], v[30:31]
	s_cbranch_execz .LBB0_469
; %bb.466:                              ;   in Loop: Header=BB0_415 Depth=1
	s_mov_b32 s14, 0
.LBB0_467:                              ;   Parent Loop BB0_415 Depth=1
                                        ; =>  This Inner Loop Header: Depth=2
	s_sleep 1
	s_clause 0x1
	global_load_b64 v[28:29], v13, s[4:5] offset:40
	global_load_b64 v[36:37], v13, s[4:5]
	v_mov_b64_e32 v[30:31], v[34:35]
	s_wait_loadcnt 0x1
	s_delay_alu instid0(VALU_DEP_1) | instskip(SKIP_1) | instid1(VALU_DEP_1)
	v_and_b32_e32 v1, v28, v30
	s_wait_loadcnt 0x0
	v_mad_nc_u64_u32 v[34:35], v1, 24, v[36:37]
	s_delay_alu instid0(VALU_DEP_3) | instskip(NEXT) | instid1(VALU_DEP_1)
	v_and_b32_e32 v1, v29, v31
	v_mad_u32 v35, v1, 24, v35
	global_load_b64 v[28:29], v[34:35], off scope:SCOPE_SYS
	s_wait_xcnt 0x0
	s_wait_loadcnt 0x0
	global_atomic_cmpswap_b64 v[34:35], v13, v[28:31], s[4:5] offset:24 th:TH_ATOMIC_RETURN scope:SCOPE_SYS
	s_wait_loadcnt 0x0
	global_inv scope:SCOPE_SYS
	v_cmp_eq_u64_e32 vcc_lo, v[34:35], v[30:31]
	s_or_b32 s14, vcc_lo, s14
	s_wait_xcnt 0x0
	s_and_not1_b32 exec_lo, exec_lo, s14
	s_cbranch_execnz .LBB0_467
; %bb.468:                              ;   in Loop: Header=BB0_415 Depth=1
	s_or_b32 exec_lo, exec_lo, s14
.LBB0_469:                              ;   in Loop: Header=BB0_415 Depth=1
	s_delay_alu instid0(SALU_CYCLE_1)
	s_or_b32 exec_lo, exec_lo, s13
.LBB0_470:                              ;   in Loop: Header=BB0_415 Depth=1
	s_delay_alu instid0(SALU_CYCLE_1)
	s_or_b32 exec_lo, exec_lo, s12
	s_clause 0x1
	global_load_b64 v[36:37], v13, s[4:5] offset:40
	global_load_b128 v[28:31], v13, s[4:5]
	v_readfirstlane_b32 s12, v34
	v_readfirstlane_b32 s13, v35
	s_mov_b32 s14, exec_lo
	s_wait_loadcnt 0x1
	v_and_b32_e32 v36, s12, v36
	v_and_b32_e32 v37, s13, v37
	s_delay_alu instid0(VALU_DEP_1) | instskip(SKIP_1) | instid1(VALU_DEP_1)
	v_mul_u64_e32 v[34:35], 24, v[36:37]
	s_wait_loadcnt 0x0
	v_add_nc_u64_e32 v[34:35], v[28:29], v[34:35]
	s_wait_xcnt 0x0
	s_and_saveexec_b32 s15, s3
	s_cbranch_execz .LBB0_472
; %bb.471:                              ;   in Loop: Header=BB0_415 Depth=1
	v_mov_b32_e32 v12, s14
	global_store_b128 v[34:35], v[12:15], off offset:8
.LBB0_472:                              ;   in Loop: Header=BB0_415 Depth=1
	s_wait_xcnt 0x0
	s_or_b32 exec_lo, exec_lo, s15
	v_cmp_lt_u64_e64 vcc_lo, s[8:9], 57
	v_lshlrev_b64_e32 v[36:37], 12, v[36:37]
	v_and_b32_e32 v5, 0xffffff1f, v8
	s_lshl_b32 s14, s10, 2
	s_delay_alu instid0(SALU_CYCLE_1) | instskip(SKIP_1) | instid1(VALU_DEP_3)
	s_add_co_i32 s14, s14, 28
	v_cndmask_b32_e32 v1, 0, v0, vcc_lo
	v_add_nc_u64_e32 v[30:31], v[30:31], v[36:37]
	s_delay_alu instid0(VALU_DEP_2) | instskip(NEXT) | instid1(VALU_DEP_2)
	v_or_b32_e32 v1, v5, v1
	v_readfirstlane_b32 s15, v31
	s_delay_alu instid0(VALU_DEP_2) | instskip(NEXT) | instid1(VALU_DEP_4)
	v_and_or_b32 v8, 0x1e0, s14, v1
	v_readfirstlane_b32 s14, v30
	s_clause 0x3
	global_store_b128 v4, v[8:11], s[14:15]
	global_store_b128 v4, v[16:19], s[14:15] offset:16
	global_store_b128 v4, v[20:23], s[14:15] offset:32
	;; [unrolled: 1-line block ×3, first 2 shown]
	s_wait_xcnt 0x0
	s_and_saveexec_b32 s14, s3
	s_cbranch_execz .LBB0_480
; %bb.473:                              ;   in Loop: Header=BB0_415 Depth=1
	s_clause 0x1
	global_load_b64 v[20:21], v13, s[4:5] offset:32 scope:SCOPE_SYS
	global_load_b64 v[8:9], v13, s[4:5] offset:40
	s_mov_b32 s15, exec_lo
	v_dual_mov_b32 v18, s12 :: v_dual_mov_b32 v19, s13
	s_wait_loadcnt 0x0
	v_and_b32_e32 v9, s13, v9
	v_and_b32_e32 v8, s12, v8
	s_delay_alu instid0(VALU_DEP_1) | instskip(NEXT) | instid1(VALU_DEP_1)
	v_mul_u64_e32 v[8:9], 24, v[8:9]
	v_add_nc_u64_e32 v[16:17], v[28:29], v[8:9]
	global_store_b64 v[16:17], v[20:21], off
	global_wb scope:SCOPE_SYS
	s_wait_storecnt 0x0
	s_wait_xcnt 0x0
	global_atomic_cmpswap_b64 v[10:11], v13, v[18:21], s[4:5] offset:32 th:TH_ATOMIC_RETURN scope:SCOPE_SYS
	s_wait_loadcnt 0x0
	v_cmpx_ne_u64_e64 v[10:11], v[20:21]
	s_cbranch_execz .LBB0_476
; %bb.474:                              ;   in Loop: Header=BB0_415 Depth=1
	s_mov_b32 s16, 0
.LBB0_475:                              ;   Parent Loop BB0_415 Depth=1
                                        ; =>  This Inner Loop Header: Depth=2
	v_dual_mov_b32 v8, s12 :: v_dual_mov_b32 v9, s13
	s_sleep 1
	global_store_b64 v[16:17], v[10:11], off
	global_wb scope:SCOPE_SYS
	s_wait_storecnt 0x0
	s_wait_xcnt 0x0
	global_atomic_cmpswap_b64 v[8:9], v13, v[8:11], s[4:5] offset:32 th:TH_ATOMIC_RETURN scope:SCOPE_SYS
	s_wait_loadcnt 0x0
	v_cmp_eq_u64_e32 vcc_lo, v[8:9], v[10:11]
	v_mov_b64_e32 v[10:11], v[8:9]
	s_or_b32 s16, vcc_lo, s16
	s_delay_alu instid0(SALU_CYCLE_1)
	s_and_not1_b32 exec_lo, exec_lo, s16
	s_cbranch_execnz .LBB0_475
.LBB0_476:                              ;   in Loop: Header=BB0_415 Depth=1
	s_or_b32 exec_lo, exec_lo, s15
	global_load_b64 v[8:9], v13, s[4:5] offset:16
	s_mov_b32 s16, exec_lo
	s_mov_b32 s15, exec_lo
	v_mbcnt_lo_u32_b32 v1, s16, 0
	s_wait_xcnt 0x0
	s_delay_alu instid0(VALU_DEP_1)
	v_cmpx_eq_u32_e32 0, v1
	s_cbranch_execz .LBB0_478
; %bb.477:                              ;   in Loop: Header=BB0_415 Depth=1
	s_bcnt1_i32_b32 s16, s16
	s_delay_alu instid0(SALU_CYCLE_1)
	v_mov_b32_e32 v12, s16
	global_wb scope:SCOPE_SYS
	s_wait_loadcnt 0x0
	s_wait_storecnt 0x0
	global_atomic_add_u64 v[8:9], v[12:13], off offset:8 scope:SCOPE_SYS
.LBB0_478:                              ;   in Loop: Header=BB0_415 Depth=1
	s_wait_xcnt 0x0
	s_or_b32 exec_lo, exec_lo, s15
	s_wait_loadcnt 0x0
	global_load_b64 v[10:11], v[8:9], off offset:16
	s_wait_loadcnt 0x0
	v_cmp_eq_u64_e32 vcc_lo, 0, v[10:11]
	s_cbranch_vccnz .LBB0_480
; %bb.479:                              ;   in Loop: Header=BB0_415 Depth=1
	global_load_b32 v12, v[8:9], off offset:24
	s_wait_loadcnt 0x0
	v_readfirstlane_b32 s15, v12
	global_wb scope:SCOPE_SYS
	s_wait_storecnt 0x0
	s_wait_xcnt 0x0
	global_store_b64 v[10:11], v[12:13], off scope:SCOPE_SYS
	s_and_b32 m0, s15, 0xffffff
	s_sendmsg sendmsg(MSG_INTERRUPT)
.LBB0_480:                              ;   in Loop: Header=BB0_415 Depth=1
	s_wait_xcnt 0x0
	s_or_b32 exec_lo, exec_lo, s14
	v_mov_b32_e32 v5, v13
	s_delay_alu instid0(VALU_DEP_1)
	v_add_nc_u64_e32 v[8:9], v[30:31], v[4:5]
	s_branch .LBB0_484
.LBB0_481:                              ;   in Loop: Header=BB0_484 Depth=2
	s_wait_xcnt 0x0
	s_or_b32 exec_lo, exec_lo, s14
	s_delay_alu instid0(VALU_DEP_1)
	v_readfirstlane_b32 s14, v1
	s_cmp_eq_u32 s14, 0
	s_cbranch_scc1 .LBB0_483
; %bb.482:                              ;   in Loop: Header=BB0_484 Depth=2
	s_sleep 1
	s_cbranch_execnz .LBB0_484
	s_branch .LBB0_486
.LBB0_483:                              ;   in Loop: Header=BB0_415 Depth=1
	s_branch .LBB0_486
.LBB0_484:                              ;   Parent Loop BB0_415 Depth=1
                                        ; =>  This Inner Loop Header: Depth=2
	v_mov_b32_e32 v1, 1
	s_and_saveexec_b32 s14, s3
	s_cbranch_execz .LBB0_481
; %bb.485:                              ;   in Loop: Header=BB0_484 Depth=2
	global_load_b32 v1, v[34:35], off offset:20 scope:SCOPE_SYS
	s_wait_loadcnt 0x0
	global_inv scope:SCOPE_SYS
	v_and_b32_e32 v1, 1, v1
	s_branch .LBB0_481
.LBB0_486:                              ;   in Loop: Header=BB0_415 Depth=1
	global_load_b64 v[8:9], v[8:9], off
	s_wait_xcnt 0x0
	s_and_saveexec_b32 s14, s3
	s_cbranch_execz .LBB0_414
; %bb.487:                              ;   in Loop: Header=BB0_415 Depth=1
	s_clause 0x2
	global_load_b64 v[10:11], v13, s[4:5] offset:40
	global_load_b64 v[20:21], v13, s[4:5] offset:24 scope:SCOPE_SYS
	global_load_b64 v[16:17], v13, s[4:5]
	s_wait_loadcnt 0x2
	v_readfirstlane_b32 s16, v10
	v_readfirstlane_b32 s17, v11
	s_add_nc_u64 s[20:21], s[16:17], 1
	s_delay_alu instid0(SALU_CYCLE_1) | instskip(NEXT) | instid1(SALU_CYCLE_1)
	s_add_nc_u64 s[12:13], s[20:21], s[12:13]
	s_cmp_eq_u64 s[12:13], 0
	s_cselect_b32 s13, s21, s13
	s_cselect_b32 s12, s20, s12
	s_delay_alu instid0(SALU_CYCLE_1) | instskip(SKIP_1) | instid1(SALU_CYCLE_1)
	v_dual_mov_b32 v19, s13 :: v_dual_mov_b32 v18, s12
	s_and_b64 s[16:17], s[12:13], s[16:17]
	s_mul_u64 s[16:17], s[16:17], 24
	s_wait_loadcnt 0x0
	v_add_nc_u64_e32 v[10:11], s[16:17], v[16:17]
	global_store_b64 v[10:11], v[20:21], off
	global_wb scope:SCOPE_SYS
	s_wait_storecnt 0x0
	s_wait_xcnt 0x0
	global_atomic_cmpswap_b64 v[18:19], v13, v[18:21], s[4:5] offset:24 th:TH_ATOMIC_RETURN scope:SCOPE_SYS
	s_wait_loadcnt 0x0
	v_cmp_ne_u64_e32 vcc_lo, v[18:19], v[20:21]
	s_and_b32 exec_lo, exec_lo, vcc_lo
	s_cbranch_execz .LBB0_414
; %bb.488:                              ;   in Loop: Header=BB0_415 Depth=1
	s_mov_b32 s3, 0
.LBB0_489:                              ;   Parent Loop BB0_415 Depth=1
                                        ; =>  This Inner Loop Header: Depth=2
	v_dual_mov_b32 v16, s12 :: v_dual_mov_b32 v17, s13
	s_sleep 1
	global_store_b64 v[10:11], v[18:19], off
	global_wb scope:SCOPE_SYS
	s_wait_storecnt 0x0
	s_wait_xcnt 0x0
	global_atomic_cmpswap_b64 v[16:17], v13, v[16:19], s[4:5] offset:24 th:TH_ATOMIC_RETURN scope:SCOPE_SYS
	s_wait_loadcnt 0x0
	v_cmp_eq_u64_e32 vcc_lo, v[16:17], v[18:19]
	v_mov_b64_e32 v[18:19], v[16:17]
	s_or_b32 s3, vcc_lo, s3
	s_delay_alu instid0(SALU_CYCLE_1)
	s_and_not1_b32 exec_lo, exec_lo, s3
	s_cbranch_execnz .LBB0_489
	s_branch .LBB0_414
.LBB0_490:
	s_branch .LBB0_519
.LBB0_491:
                                        ; implicit-def: $vgpr8_vgpr9
	s_cbranch_execz .LBB0_519
; %bb.492:
	v_readfirstlane_b32 s3, v32
	v_mov_b64_e32 v[0:1], 0
	s_delay_alu instid0(VALU_DEP_2)
	v_cmp_eq_u32_e64 s3, s3, v32
	s_and_saveexec_b32 s6, s3
	s_cbranch_execz .LBB0_498
; %bb.493:
	v_mov_b32_e32 v5, 0
	s_mov_b32 s7, exec_lo
	global_load_b64 v[10:11], v5, s[4:5] offset:24 scope:SCOPE_SYS
	s_wait_loadcnt 0x0
	global_inv scope:SCOPE_SYS
	s_clause 0x1
	global_load_b64 v[0:1], v5, s[4:5] offset:40
	global_load_b64 v[8:9], v5, s[4:5]
	s_wait_loadcnt 0x1
	v_and_b32_e32 v0, v0, v10
	v_and_b32_e32 v1, v1, v11
	s_delay_alu instid0(VALU_DEP_1) | instskip(SKIP_1) | instid1(VALU_DEP_1)
	v_mul_u64_e32 v[0:1], 24, v[0:1]
	s_wait_loadcnt 0x0
	v_add_nc_u64_e32 v[0:1], v[8:9], v[0:1]
	global_load_b64 v[8:9], v[0:1], off scope:SCOPE_SYS
	s_wait_xcnt 0x0
	s_wait_loadcnt 0x0
	global_atomic_cmpswap_b64 v[0:1], v5, v[8:11], s[4:5] offset:24 th:TH_ATOMIC_RETURN scope:SCOPE_SYS
	s_wait_loadcnt 0x0
	global_inv scope:SCOPE_SYS
	s_wait_xcnt 0x0
	v_cmpx_ne_u64_e64 v[0:1], v[10:11]
	s_cbranch_execz .LBB0_497
; %bb.494:
	s_mov_b32 s8, 0
.LBB0_495:                              ; =>This Inner Loop Header: Depth=1
	s_sleep 1
	s_clause 0x1
	global_load_b64 v[8:9], v5, s[4:5] offset:40
	global_load_b64 v[12:13], v5, s[4:5]
	v_mov_b64_e32 v[10:11], v[0:1]
	s_wait_loadcnt 0x1
	s_delay_alu instid0(VALU_DEP_1) | instskip(NEXT) | instid1(VALU_DEP_2)
	v_and_b32_e32 v0, v8, v10
	v_and_b32_e32 v8, v9, v11
	s_wait_loadcnt 0x0
	s_delay_alu instid0(VALU_DEP_2) | instskip(NEXT) | instid1(VALU_DEP_1)
	v_mad_nc_u64_u32 v[0:1], v0, 24, v[12:13]
	v_mad_u32 v1, v8, 24, v1
	global_load_b64 v[8:9], v[0:1], off scope:SCOPE_SYS
	s_wait_xcnt 0x0
	s_wait_loadcnt 0x0
	global_atomic_cmpswap_b64 v[0:1], v5, v[8:11], s[4:5] offset:24 th:TH_ATOMIC_RETURN scope:SCOPE_SYS
	s_wait_loadcnt 0x0
	global_inv scope:SCOPE_SYS
	v_cmp_eq_u64_e32 vcc_lo, v[0:1], v[10:11]
	s_or_b32 s8, vcc_lo, s8
	s_wait_xcnt 0x0
	s_and_not1_b32 exec_lo, exec_lo, s8
	s_cbranch_execnz .LBB0_495
; %bb.496:
	s_or_b32 exec_lo, exec_lo, s8
.LBB0_497:
	s_delay_alu instid0(SALU_CYCLE_1)
	s_or_b32 exec_lo, exec_lo, s7
.LBB0_498:
	s_delay_alu instid0(SALU_CYCLE_1)
	s_or_b32 exec_lo, exec_lo, s6
	v_readfirstlane_b32 s6, v0
	v_mov_b32_e32 v5, 0
	v_readfirstlane_b32 s7, v1
	s_mov_b32 s8, exec_lo
	s_wait_loadcnt 0x0
	s_clause 0x1
	global_load_b64 v[8:9], v5, s[4:5] offset:40
	global_load_b128 v[10:13], v5, s[4:5]
	s_wait_loadcnt 0x1
	v_and_b32_e32 v8, s6, v8
	v_and_b32_e32 v9, s7, v9
	s_delay_alu instid0(VALU_DEP_1) | instskip(SKIP_1) | instid1(VALU_DEP_1)
	v_mul_u64_e32 v[0:1], 24, v[8:9]
	s_wait_loadcnt 0x0
	v_add_nc_u64_e32 v[0:1], v[10:11], v[0:1]
	s_wait_xcnt 0x0
	s_and_saveexec_b32 s9, s3
	s_cbranch_execz .LBB0_500
; %bb.499:
	v_mov_b64_e32 v[16:17], 0x100000002
	v_dual_mov_b32 v14, s8 :: v_dual_mov_b32 v15, v5
	global_store_b128 v[0:1], v[14:17], off offset:8
.LBB0_500:
	s_wait_xcnt 0x0
	s_or_b32 exec_lo, exec_lo, s9
	v_lshlrev_b64_e32 v[8:9], 12, v[8:9]
	s_mov_b32 s8, 0
	v_and_or_b32 v6, 0xffffff1f, v6, 32
	s_mov_b32 s10, s8
	s_mov_b32 s11, s8
	;; [unrolled: 1-line block ×3, first 2 shown]
	v_mov_b64_e32 v[16:17], s[10:11]
	v_add_nc_u64_e32 v[12:13], v[12:13], v[8:9]
	v_mov_b64_e32 v[14:15], s[8:9]
	v_dual_mov_b32 v8, v5 :: v_dual_mov_b32 v9, v5
	s_delay_alu instid0(VALU_DEP_3) | instskip(NEXT) | instid1(VALU_DEP_4)
	v_readfirstlane_b32 s12, v12
	v_readfirstlane_b32 s13, v13
	s_clause 0x3
	global_store_b128 v4, v[6:9], s[12:13]
	global_store_b128 v4, v[14:17], s[12:13] offset:16
	global_store_b128 v4, v[14:17], s[12:13] offset:32
	;; [unrolled: 1-line block ×3, first 2 shown]
	s_wait_xcnt 0x0
	s_and_saveexec_b32 s8, s3
	s_cbranch_execz .LBB0_508
; %bb.501:
	v_dual_mov_b32 v14, 0 :: v_dual_mov_b32 v17, s7
	s_mov_b32 s9, exec_lo
	s_clause 0x1
	global_load_b64 v[18:19], v14, s[4:5] offset:32 scope:SCOPE_SYS
	global_load_b64 v[6:7], v14, s[4:5] offset:40
	s_wait_loadcnt 0x0
	v_dual_mov_b32 v16, s6 :: v_dual_bitop2_b32 v7, s7, v7 bitop3:0x40
	v_and_b32_e32 v6, s6, v6
	s_delay_alu instid0(VALU_DEP_1) | instskip(NEXT) | instid1(VALU_DEP_1)
	v_mul_u64_e32 v[6:7], 24, v[6:7]
	v_add_nc_u64_e32 v[10:11], v[10:11], v[6:7]
	global_store_b64 v[10:11], v[18:19], off
	global_wb scope:SCOPE_SYS
	s_wait_storecnt 0x0
	s_wait_xcnt 0x0
	global_atomic_cmpswap_b64 v[8:9], v14, v[16:19], s[4:5] offset:32 th:TH_ATOMIC_RETURN scope:SCOPE_SYS
	s_wait_loadcnt 0x0
	v_cmpx_ne_u64_e64 v[8:9], v[18:19]
	s_cbranch_execz .LBB0_504
; %bb.502:
	s_mov_b32 s10, 0
.LBB0_503:                              ; =>This Inner Loop Header: Depth=1
	v_dual_mov_b32 v6, s6 :: v_dual_mov_b32 v7, s7
	s_sleep 1
	global_store_b64 v[10:11], v[8:9], off
	global_wb scope:SCOPE_SYS
	s_wait_storecnt 0x0
	s_wait_xcnt 0x0
	global_atomic_cmpswap_b64 v[6:7], v14, v[6:9], s[4:5] offset:32 th:TH_ATOMIC_RETURN scope:SCOPE_SYS
	s_wait_loadcnt 0x0
	v_cmp_eq_u64_e32 vcc_lo, v[6:7], v[8:9]
	v_mov_b64_e32 v[8:9], v[6:7]
	s_or_b32 s10, vcc_lo, s10
	s_delay_alu instid0(SALU_CYCLE_1)
	s_and_not1_b32 exec_lo, exec_lo, s10
	s_cbranch_execnz .LBB0_503
.LBB0_504:
	s_or_b32 exec_lo, exec_lo, s9
	v_mov_b32_e32 v9, 0
	s_mov_b32 s10, exec_lo
	s_mov_b32 s9, exec_lo
	v_mbcnt_lo_u32_b32 v8, s10, 0
	global_load_b64 v[6:7], v9, s[4:5] offset:16
	s_wait_xcnt 0x0
	v_cmpx_eq_u32_e32 0, v8
	s_cbranch_execz .LBB0_506
; %bb.505:
	s_bcnt1_i32_b32 s10, s10
	s_delay_alu instid0(SALU_CYCLE_1)
	v_mov_b32_e32 v8, s10
	global_wb scope:SCOPE_SYS
	s_wait_loadcnt 0x0
	s_wait_storecnt 0x0
	global_atomic_add_u64 v[6:7], v[8:9], off offset:8 scope:SCOPE_SYS
.LBB0_506:
	s_wait_xcnt 0x0
	s_or_b32 exec_lo, exec_lo, s9
	s_wait_loadcnt 0x0
	global_load_b64 v[8:9], v[6:7], off offset:16
	s_wait_loadcnt 0x0
	v_cmp_eq_u64_e32 vcc_lo, 0, v[8:9]
	s_cbranch_vccnz .LBB0_508
; %bb.507:
	global_load_b32 v6, v[6:7], off offset:24
	s_wait_xcnt 0x0
	v_mov_b32_e32 v7, 0
	s_wait_loadcnt 0x0
	v_readfirstlane_b32 s9, v6
	global_wb scope:SCOPE_SYS
	s_wait_storecnt 0x0
	global_store_b64 v[8:9], v[6:7], off scope:SCOPE_SYS
	s_and_b32 m0, s9, 0xffffff
	s_sendmsg sendmsg(MSG_INTERRUPT)
.LBB0_508:
	s_wait_xcnt 0x0
	s_or_b32 exec_lo, exec_lo, s8
	v_add_nc_u64_e32 v[6:7], v[12:13], v[4:5]
	s_branch .LBB0_512
.LBB0_509:                              ;   in Loop: Header=BB0_512 Depth=1
	s_wait_xcnt 0x0
	s_or_b32 exec_lo, exec_lo, s8
	s_delay_alu instid0(VALU_DEP_1)
	v_readfirstlane_b32 s8, v5
	s_cmp_eq_u32 s8, 0
	s_cbranch_scc1 .LBB0_511
; %bb.510:                              ;   in Loop: Header=BB0_512 Depth=1
	s_sleep 1
	s_cbranch_execnz .LBB0_512
	s_branch .LBB0_514
.LBB0_511:
	s_branch .LBB0_514
.LBB0_512:                              ; =>This Inner Loop Header: Depth=1
	v_mov_b32_e32 v5, 1
	s_and_saveexec_b32 s8, s3
	s_cbranch_execz .LBB0_509
; %bb.513:                              ;   in Loop: Header=BB0_512 Depth=1
	global_load_b32 v5, v[0:1], off offset:20 scope:SCOPE_SYS
	s_wait_loadcnt 0x0
	global_inv scope:SCOPE_SYS
	v_and_b32_e32 v5, 1, v5
	s_branch .LBB0_509
.LBB0_514:
	global_load_b64 v[8:9], v[6:7], off
	s_wait_xcnt 0x0
	s_and_saveexec_b32 s8, s3
	s_cbranch_execz .LBB0_518
; %bb.515:
	v_mov_b32_e32 v5, 0
	s_clause 0x2
	global_load_b64 v[0:1], v5, s[4:5] offset:40
	global_load_b64 v[14:15], v5, s[4:5] offset:24 scope:SCOPE_SYS
	global_load_b64 v[6:7], v5, s[4:5]
	s_wait_loadcnt 0x2
	v_readfirstlane_b32 s10, v0
	v_readfirstlane_b32 s11, v1
	s_add_nc_u64 s[12:13], s[10:11], 1
	s_delay_alu instid0(SALU_CYCLE_1) | instskip(NEXT) | instid1(SALU_CYCLE_1)
	s_add_nc_u64 s[6:7], s[12:13], s[6:7]
	s_cmp_eq_u64 s[6:7], 0
	s_cselect_b32 s7, s13, s7
	s_cselect_b32 s6, s12, s6
	v_mov_b32_e32 v13, s7
	s_and_b64 s[10:11], s[6:7], s[10:11]
	v_mov_b32_e32 v12, s6
	s_mul_u64 s[10:11], s[10:11], 24
	s_wait_loadcnt 0x0
	v_add_nc_u64_e32 v[0:1], s[10:11], v[6:7]
	global_store_b64 v[0:1], v[14:15], off
	global_wb scope:SCOPE_SYS
	s_wait_storecnt 0x0
	s_wait_xcnt 0x0
	global_atomic_cmpswap_b64 v[12:13], v5, v[12:15], s[4:5] offset:24 th:TH_ATOMIC_RETURN scope:SCOPE_SYS
	s_wait_loadcnt 0x0
	v_cmp_ne_u64_e32 vcc_lo, v[12:13], v[14:15]
	s_and_b32 exec_lo, exec_lo, vcc_lo
	s_cbranch_execz .LBB0_518
; %bb.516:
	s_mov_b32 s3, 0
.LBB0_517:                              ; =>This Inner Loop Header: Depth=1
	v_dual_mov_b32 v10, s6 :: v_dual_mov_b32 v11, s7
	s_sleep 1
	global_store_b64 v[0:1], v[12:13], off
	global_wb scope:SCOPE_SYS
	s_wait_storecnt 0x0
	s_wait_xcnt 0x0
	global_atomic_cmpswap_b64 v[6:7], v5, v[10:13], s[4:5] offset:24 th:TH_ATOMIC_RETURN scope:SCOPE_SYS
	s_wait_loadcnt 0x0
	v_cmp_eq_u64_e32 vcc_lo, v[6:7], v[12:13]
	v_mov_b64_e32 v[12:13], v[6:7]
	s_or_b32 s3, vcc_lo, s3
	s_delay_alu instid0(SALU_CYCLE_1)
	s_and_not1_b32 exec_lo, exec_lo, s3
	s_cbranch_execnz .LBB0_517
.LBB0_518:
	s_or_b32 exec_lo, exec_lo, s8
.LBB0_519:
	v_readfirstlane_b32 s3, v32
	v_mov_b64_e32 v[0:1], 0
	s_delay_alu instid0(VALU_DEP_2)
	v_cmp_eq_u32_e64 s3, s3, v32
	s_and_saveexec_b32 s6, s3
	s_cbranch_execz .LBB0_525
; %bb.520:
	v_mov_b32_e32 v5, 0
	s_mov_b32 s7, exec_lo
	global_load_b64 v[12:13], v5, s[4:5] offset:24 scope:SCOPE_SYS
	s_wait_loadcnt 0x0
	global_inv scope:SCOPE_SYS
	s_clause 0x1
	global_load_b64 v[0:1], v5, s[4:5] offset:40
	global_load_b64 v[6:7], v5, s[4:5]
	s_wait_loadcnt 0x1
	v_and_b32_e32 v0, v0, v12
	v_and_b32_e32 v1, v1, v13
	s_delay_alu instid0(VALU_DEP_1) | instskip(SKIP_1) | instid1(VALU_DEP_1)
	v_mul_u64_e32 v[0:1], 24, v[0:1]
	s_wait_loadcnt 0x0
	v_add_nc_u64_e32 v[0:1], v[6:7], v[0:1]
	global_load_b64 v[10:11], v[0:1], off scope:SCOPE_SYS
	s_wait_xcnt 0x0
	s_wait_loadcnt 0x0
	global_atomic_cmpswap_b64 v[0:1], v5, v[10:13], s[4:5] offset:24 th:TH_ATOMIC_RETURN scope:SCOPE_SYS
	s_wait_loadcnt 0x0
	global_inv scope:SCOPE_SYS
	s_wait_xcnt 0x0
	v_cmpx_ne_u64_e64 v[0:1], v[12:13]
	s_cbranch_execz .LBB0_524
; %bb.521:
	s_mov_b32 s8, 0
.LBB0_522:                              ; =>This Inner Loop Header: Depth=1
	s_sleep 1
	s_clause 0x1
	global_load_b64 v[6:7], v5, s[4:5] offset:40
	global_load_b64 v[10:11], v5, s[4:5]
	v_mov_b64_e32 v[12:13], v[0:1]
	s_wait_loadcnt 0x1
	s_delay_alu instid0(VALU_DEP_1) | instskip(NEXT) | instid1(VALU_DEP_2)
	v_and_b32_e32 v0, v6, v12
	v_and_b32_e32 v6, v7, v13
	s_wait_loadcnt 0x0
	s_delay_alu instid0(VALU_DEP_2) | instskip(NEXT) | instid1(VALU_DEP_1)
	v_mad_nc_u64_u32 v[0:1], v0, 24, v[10:11]
	v_mad_u32 v1, v6, 24, v1
	global_load_b64 v[10:11], v[0:1], off scope:SCOPE_SYS
	s_wait_xcnt 0x0
	s_wait_loadcnt 0x0
	global_atomic_cmpswap_b64 v[0:1], v5, v[10:13], s[4:5] offset:24 th:TH_ATOMIC_RETURN scope:SCOPE_SYS
	s_wait_loadcnt 0x0
	global_inv scope:SCOPE_SYS
	v_cmp_eq_u64_e32 vcc_lo, v[0:1], v[12:13]
	s_or_b32 s8, vcc_lo, s8
	s_wait_xcnt 0x0
	s_and_not1_b32 exec_lo, exec_lo, s8
	s_cbranch_execnz .LBB0_522
; %bb.523:
	s_or_b32 exec_lo, exec_lo, s8
.LBB0_524:
	s_delay_alu instid0(SALU_CYCLE_1)
	s_or_b32 exec_lo, exec_lo, s7
.LBB0_525:
	s_delay_alu instid0(SALU_CYCLE_1)
	s_or_b32 exec_lo, exec_lo, s6
	v_readfirstlane_b32 s6, v0
	v_mov_b32_e32 v5, 0
	v_readfirstlane_b32 s7, v1
	s_mov_b32 s8, exec_lo
	s_wait_loadcnt 0x0
	s_clause 0x1
	global_load_b64 v[6:7], v5, s[4:5] offset:40
	global_load_b128 v[12:15], v5, s[4:5]
	s_wait_loadcnt 0x1
	v_and_b32_e32 v6, s6, v6
	v_and_b32_e32 v7, s7, v7
	s_delay_alu instid0(VALU_DEP_1) | instskip(SKIP_1) | instid1(VALU_DEP_1)
	v_mul_u64_e32 v[0:1], 24, v[6:7]
	s_wait_loadcnt 0x0
	v_add_nc_u64_e32 v[0:1], v[12:13], v[0:1]
	s_wait_xcnt 0x0
	s_and_saveexec_b32 s9, s3
	s_cbranch_execz .LBB0_527
; %bb.526:
	v_mov_b64_e32 v[18:19], 0x100000002
	v_dual_mov_b32 v16, s8 :: v_dual_mov_b32 v17, v5
	global_store_b128 v[0:1], v[16:19], off offset:8
.LBB0_527:
	s_wait_xcnt 0x0
	s_or_b32 exec_lo, exec_lo, s9
	v_lshlrev_b64_e32 v[6:7], 12, v[6:7]
	s_mov_b32 s8, 0
	v_dual_mov_b32 v11, v5 :: v_dual_add_nc_u32 v10, -1, v39
	s_mov_b32 s10, s8
	s_mov_b32 s11, s8
	;; [unrolled: 1-line block ×3, first 2 shown]
	s_delay_alu instid0(VALU_DEP_2) | instskip(SKIP_3) | instid1(VALU_DEP_4)
	v_add_nc_u64_e32 v[14:15], v[14:15], v[6:7]
	v_mov_b64_e32 v[18:19], s[10:11]
	v_mov_b64_e32 v[16:17], s[8:9]
	v_and_or_b32 v8, 0xffffff1f, v8, 32
	v_readfirstlane_b32 s12, v14
	v_readfirstlane_b32 s13, v15
	s_clause 0x3
	global_store_b128 v4, v[8:11], s[12:13]
	global_store_b128 v4, v[16:19], s[12:13] offset:16
	global_store_b128 v4, v[16:19], s[12:13] offset:32
	;; [unrolled: 1-line block ×3, first 2 shown]
	s_wait_xcnt 0x0
	s_and_saveexec_b32 s8, s3
	s_cbranch_execz .LBB0_535
; %bb.528:
	v_dual_mov_b32 v16, 0 :: v_dual_mov_b32 v19, s7
	s_mov_b32 s9, exec_lo
	s_clause 0x1
	global_load_b64 v[20:21], v16, s[4:5] offset:32 scope:SCOPE_SYS
	global_load_b64 v[6:7], v16, s[4:5] offset:40
	s_wait_loadcnt 0x0
	v_dual_mov_b32 v18, s6 :: v_dual_bitop2_b32 v7, s7, v7 bitop3:0x40
	v_and_b32_e32 v6, s6, v6
	s_delay_alu instid0(VALU_DEP_1) | instskip(NEXT) | instid1(VALU_DEP_1)
	v_mul_u64_e32 v[6:7], 24, v[6:7]
	v_add_nc_u64_e32 v[10:11], v[12:13], v[6:7]
	global_store_b64 v[10:11], v[20:21], off
	global_wb scope:SCOPE_SYS
	s_wait_storecnt 0x0
	s_wait_xcnt 0x0
	global_atomic_cmpswap_b64 v[8:9], v16, v[18:21], s[4:5] offset:32 th:TH_ATOMIC_RETURN scope:SCOPE_SYS
	s_wait_loadcnt 0x0
	v_cmpx_ne_u64_e64 v[8:9], v[20:21]
	s_cbranch_execz .LBB0_531
; %bb.529:
	s_mov_b32 s10, 0
.LBB0_530:                              ; =>This Inner Loop Header: Depth=1
	v_dual_mov_b32 v6, s6 :: v_dual_mov_b32 v7, s7
	s_sleep 1
	global_store_b64 v[10:11], v[8:9], off
	global_wb scope:SCOPE_SYS
	s_wait_storecnt 0x0
	s_wait_xcnt 0x0
	global_atomic_cmpswap_b64 v[6:7], v16, v[6:9], s[4:5] offset:32 th:TH_ATOMIC_RETURN scope:SCOPE_SYS
	s_wait_loadcnt 0x0
	v_cmp_eq_u64_e32 vcc_lo, v[6:7], v[8:9]
	v_mov_b64_e32 v[8:9], v[6:7]
	s_or_b32 s10, vcc_lo, s10
	s_delay_alu instid0(SALU_CYCLE_1)
	s_and_not1_b32 exec_lo, exec_lo, s10
	s_cbranch_execnz .LBB0_530
.LBB0_531:
	s_or_b32 exec_lo, exec_lo, s9
	v_mov_b32_e32 v9, 0
	s_mov_b32 s10, exec_lo
	s_mov_b32 s9, exec_lo
	v_mbcnt_lo_u32_b32 v8, s10, 0
	global_load_b64 v[6:7], v9, s[4:5] offset:16
	s_wait_xcnt 0x0
	v_cmpx_eq_u32_e32 0, v8
	s_cbranch_execz .LBB0_533
; %bb.532:
	s_bcnt1_i32_b32 s10, s10
	s_delay_alu instid0(SALU_CYCLE_1)
	v_mov_b32_e32 v8, s10
	global_wb scope:SCOPE_SYS
	s_wait_loadcnt 0x0
	s_wait_storecnt 0x0
	global_atomic_add_u64 v[6:7], v[8:9], off offset:8 scope:SCOPE_SYS
.LBB0_533:
	s_wait_xcnt 0x0
	s_or_b32 exec_lo, exec_lo, s9
	s_wait_loadcnt 0x0
	global_load_b64 v[8:9], v[6:7], off offset:16
	s_wait_loadcnt 0x0
	v_cmp_eq_u64_e32 vcc_lo, 0, v[8:9]
	s_cbranch_vccnz .LBB0_535
; %bb.534:
	global_load_b32 v6, v[6:7], off offset:24
	s_wait_xcnt 0x0
	v_mov_b32_e32 v7, 0
	s_wait_loadcnt 0x0
	v_readfirstlane_b32 s9, v6
	global_wb scope:SCOPE_SYS
	s_wait_storecnt 0x0
	global_store_b64 v[8:9], v[6:7], off scope:SCOPE_SYS
	s_and_b32 m0, s9, 0xffffff
	s_sendmsg sendmsg(MSG_INTERRUPT)
.LBB0_535:
	s_wait_xcnt 0x0
	s_or_b32 exec_lo, exec_lo, s8
	v_add_nc_u64_e32 v[6:7], v[14:15], v[4:5]
	s_branch .LBB0_539
.LBB0_536:                              ;   in Loop: Header=BB0_539 Depth=1
	s_wait_xcnt 0x0
	s_or_b32 exec_lo, exec_lo, s8
	s_delay_alu instid0(VALU_DEP_1)
	v_readfirstlane_b32 s8, v5
	s_cmp_eq_u32 s8, 0
	s_cbranch_scc1 .LBB0_538
; %bb.537:                              ;   in Loop: Header=BB0_539 Depth=1
	s_sleep 1
	s_cbranch_execnz .LBB0_539
	s_branch .LBB0_541
.LBB0_538:
	s_branch .LBB0_541
.LBB0_539:                              ; =>This Inner Loop Header: Depth=1
	v_mov_b32_e32 v5, 1
	s_and_saveexec_b32 s8, s3
	s_cbranch_execz .LBB0_536
; %bb.540:                              ;   in Loop: Header=BB0_539 Depth=1
	global_load_b32 v5, v[0:1], off offset:20 scope:SCOPE_SYS
	s_wait_loadcnt 0x0
	global_inv scope:SCOPE_SYS
	v_and_b32_e32 v5, 1, v5
	s_branch .LBB0_536
.LBB0_541:
	global_load_b64 v[6:7], v[6:7], off
	s_wait_xcnt 0x0
	s_and_saveexec_b32 s8, s3
	s_cbranch_execz .LBB0_545
; %bb.542:
	v_mov_b32_e32 v5, 0
	s_clause 0x2
	global_load_b64 v[0:1], v5, s[4:5] offset:40
	global_load_b64 v[12:13], v5, s[4:5] offset:24 scope:SCOPE_SYS
	global_load_b64 v[8:9], v5, s[4:5]
	s_wait_loadcnt 0x2
	v_readfirstlane_b32 s10, v0
	v_readfirstlane_b32 s11, v1
	s_add_nc_u64 s[12:13], s[10:11], 1
	s_delay_alu instid0(SALU_CYCLE_1) | instskip(NEXT) | instid1(SALU_CYCLE_1)
	s_add_nc_u64 s[6:7], s[12:13], s[6:7]
	s_cmp_eq_u64 s[6:7], 0
	s_cselect_b32 s7, s13, s7
	s_cselect_b32 s6, s12, s6
	v_mov_b32_e32 v11, s7
	s_and_b64 s[10:11], s[6:7], s[10:11]
	v_mov_b32_e32 v10, s6
	s_mul_u64 s[10:11], s[10:11], 24
	s_wait_loadcnt 0x0
	v_add_nc_u64_e32 v[0:1], s[10:11], v[8:9]
	global_store_b64 v[0:1], v[12:13], off
	global_wb scope:SCOPE_SYS
	s_wait_storecnt 0x0
	s_wait_xcnt 0x0
	global_atomic_cmpswap_b64 v[10:11], v5, v[10:13], s[4:5] offset:24 th:TH_ATOMIC_RETURN scope:SCOPE_SYS
	s_wait_loadcnt 0x0
	v_cmp_ne_u64_e32 vcc_lo, v[10:11], v[12:13]
	s_and_b32 exec_lo, exec_lo, vcc_lo
	s_cbranch_execz .LBB0_545
; %bb.543:
	s_mov_b32 s3, 0
.LBB0_544:                              ; =>This Inner Loop Header: Depth=1
	v_dual_mov_b32 v8, s6 :: v_dual_mov_b32 v9, s7
	s_sleep 1
	global_store_b64 v[0:1], v[10:11], off
	global_wb scope:SCOPE_SYS
	s_wait_storecnt 0x0
	s_wait_xcnt 0x0
	global_atomic_cmpswap_b64 v[8:9], v5, v[8:11], s[4:5] offset:24 th:TH_ATOMIC_RETURN scope:SCOPE_SYS
	s_wait_loadcnt 0x0
	v_cmp_eq_u64_e32 vcc_lo, v[8:9], v[10:11]
	v_mov_b64_e32 v[10:11], v[8:9]
	s_or_b32 s3, vcc_lo, s3
	s_delay_alu instid0(SALU_CYCLE_1)
	s_and_not1_b32 exec_lo, exec_lo, s3
	s_cbranch_execnz .LBB0_544
.LBB0_545:
	s_or_b32 exec_lo, exec_lo, s8
	v_readfirstlane_b32 s3, v32
	v_mov_b64_e32 v[0:1], 0
	s_delay_alu instid0(VALU_DEP_2)
	v_cmp_eq_u32_e64 s3, s3, v32
	s_and_saveexec_b32 s6, s3
	s_cbranch_execz .LBB0_551
; %bb.546:
	v_mov_b32_e32 v5, 0
	s_mov_b32 s7, exec_lo
	global_load_b64 v[10:11], v5, s[4:5] offset:24 scope:SCOPE_SYS
	s_wait_loadcnt 0x0
	global_inv scope:SCOPE_SYS
	s_clause 0x1
	global_load_b64 v[0:1], v5, s[4:5] offset:40
	global_load_b64 v[8:9], v5, s[4:5]
	s_wait_loadcnt 0x1
	v_and_b32_e32 v0, v0, v10
	v_and_b32_e32 v1, v1, v11
	s_delay_alu instid0(VALU_DEP_1) | instskip(SKIP_1) | instid1(VALU_DEP_1)
	v_mul_u64_e32 v[0:1], 24, v[0:1]
	s_wait_loadcnt 0x0
	v_add_nc_u64_e32 v[0:1], v[8:9], v[0:1]
	global_load_b64 v[8:9], v[0:1], off scope:SCOPE_SYS
	s_wait_xcnt 0x0
	s_wait_loadcnt 0x0
	global_atomic_cmpswap_b64 v[0:1], v5, v[8:11], s[4:5] offset:24 th:TH_ATOMIC_RETURN scope:SCOPE_SYS
	s_wait_loadcnt 0x0
	global_inv scope:SCOPE_SYS
	s_wait_xcnt 0x0
	v_cmpx_ne_u64_e64 v[0:1], v[10:11]
	s_cbranch_execz .LBB0_550
; %bb.547:
	s_mov_b32 s8, 0
.LBB0_548:                              ; =>This Inner Loop Header: Depth=1
	s_sleep 1
	s_clause 0x1
	global_load_b64 v[8:9], v5, s[4:5] offset:40
	global_load_b64 v[12:13], v5, s[4:5]
	v_mov_b64_e32 v[10:11], v[0:1]
	s_wait_loadcnt 0x1
	s_delay_alu instid0(VALU_DEP_1) | instskip(NEXT) | instid1(VALU_DEP_2)
	v_and_b32_e32 v0, v8, v10
	v_and_b32_e32 v8, v9, v11
	s_wait_loadcnt 0x0
	s_delay_alu instid0(VALU_DEP_2) | instskip(NEXT) | instid1(VALU_DEP_1)
	v_mad_nc_u64_u32 v[0:1], v0, 24, v[12:13]
	v_mad_u32 v1, v8, 24, v1
	global_load_b64 v[8:9], v[0:1], off scope:SCOPE_SYS
	s_wait_xcnt 0x0
	s_wait_loadcnt 0x0
	global_atomic_cmpswap_b64 v[0:1], v5, v[8:11], s[4:5] offset:24 th:TH_ATOMIC_RETURN scope:SCOPE_SYS
	s_wait_loadcnt 0x0
	global_inv scope:SCOPE_SYS
	v_cmp_eq_u64_e32 vcc_lo, v[0:1], v[10:11]
	s_or_b32 s8, vcc_lo, s8
	s_wait_xcnt 0x0
	s_and_not1_b32 exec_lo, exec_lo, s8
	s_cbranch_execnz .LBB0_548
; %bb.549:
	s_or_b32 exec_lo, exec_lo, s8
.LBB0_550:
	s_delay_alu instid0(SALU_CYCLE_1)
	s_or_b32 exec_lo, exec_lo, s7
.LBB0_551:
	s_delay_alu instid0(SALU_CYCLE_1)
	s_or_b32 exec_lo, exec_lo, s6
	v_readfirstlane_b32 s6, v0
	v_mov_b32_e32 v5, 0
	v_readfirstlane_b32 s7, v1
	s_mov_b32 s8, exec_lo
	s_clause 0x1
	global_load_b64 v[8:9], v5, s[4:5] offset:40
	global_load_b128 v[10:13], v5, s[4:5]
	s_wait_loadcnt 0x1
	v_and_b32_e32 v8, s6, v8
	v_and_b32_e32 v9, s7, v9
	s_delay_alu instid0(VALU_DEP_1) | instskip(SKIP_1) | instid1(VALU_DEP_1)
	v_mul_u64_e32 v[0:1], 24, v[8:9]
	s_wait_loadcnt 0x0
	v_add_nc_u64_e32 v[0:1], v[10:11], v[0:1]
	s_wait_xcnt 0x0
	s_and_saveexec_b32 s9, s3
	s_cbranch_execz .LBB0_553
; %bb.552:
	v_mov_b64_e32 v[16:17], 0x100000002
	v_dual_mov_b32 v14, s8 :: v_dual_mov_b32 v15, v5
	global_store_b128 v[0:1], v[14:17], off offset:8
.LBB0_553:
	s_wait_xcnt 0x0
	s_or_b32 exec_lo, exec_lo, s9
	v_lshlrev_b64_e32 v[14:15], 12, v[8:9]
	s_mov_b32 s8, 0
	v_dual_cndmask_b32 v8, -1, v38, s2 :: v_dual_mov_b32 v9, v5
	s_mov_b32 s10, s8
	s_mov_b32 s11, s8
	;; [unrolled: 1-line block ×3, first 2 shown]
	s_delay_alu instid0(VALU_DEP_2) | instskip(SKIP_3) | instid1(VALU_DEP_4)
	v_add_nc_u64_e32 v[14:15], v[12:13], v[14:15]
	v_mov_b64_e32 v[18:19], s[10:11]
	v_mov_b64_e32 v[16:17], s[8:9]
	v_and_or_b32 v6, 0xffffff1f, v6, 32
	v_readfirstlane_b32 s12, v14
	v_readfirstlane_b32 s13, v15
	s_clause 0x3
	global_store_b128 v4, v[6:9], s[12:13]
	global_store_b128 v4, v[16:19], s[12:13] offset:16
	global_store_b128 v4, v[16:19], s[12:13] offset:32
	;; [unrolled: 1-line block ×3, first 2 shown]
	s_wait_xcnt 0x0
	s_and_saveexec_b32 s2, s3
	s_cbranch_execz .LBB0_561
; %bb.554:
	v_dual_mov_b32 v9, 0 :: v_dual_mov_b32 v17, s7
	s_mov_b32 s8, exec_lo
	s_clause 0x1
	global_load_b64 v[18:19], v9, s[4:5] offset:32 scope:SCOPE_SYS
	global_load_b64 v[6:7], v9, s[4:5] offset:40
	s_wait_loadcnt 0x0
	v_dual_mov_b32 v16, s6 :: v_dual_bitop2_b32 v7, s7, v7 bitop3:0x40
	v_and_b32_e32 v6, s6, v6
	s_delay_alu instid0(VALU_DEP_1) | instskip(NEXT) | instid1(VALU_DEP_1)
	v_mul_u64_e32 v[6:7], 24, v[6:7]
	v_add_nc_u64_e32 v[6:7], v[10:11], v[6:7]
	global_store_b64 v[6:7], v[18:19], off
	global_wb scope:SCOPE_SYS
	s_wait_storecnt 0x0
	s_wait_xcnt 0x0
	global_atomic_cmpswap_b64 v[12:13], v9, v[16:19], s[4:5] offset:32 th:TH_ATOMIC_RETURN scope:SCOPE_SYS
	s_wait_loadcnt 0x0
	v_cmpx_ne_u64_e64 v[12:13], v[18:19]
	s_cbranch_execz .LBB0_557
; %bb.555:
	s_mov_b32 s9, 0
.LBB0_556:                              ; =>This Inner Loop Header: Depth=1
	v_dual_mov_b32 v10, s6 :: v_dual_mov_b32 v11, s7
	s_sleep 1
	global_store_b64 v[6:7], v[12:13], off
	global_wb scope:SCOPE_SYS
	s_wait_storecnt 0x0
	s_wait_xcnt 0x0
	global_atomic_cmpswap_b64 v[10:11], v9, v[10:13], s[4:5] offset:32 th:TH_ATOMIC_RETURN scope:SCOPE_SYS
	s_wait_loadcnt 0x0
	v_cmp_eq_u64_e32 vcc_lo, v[10:11], v[12:13]
	v_mov_b64_e32 v[12:13], v[10:11]
	s_or_b32 s9, vcc_lo, s9
	s_delay_alu instid0(SALU_CYCLE_1)
	s_and_not1_b32 exec_lo, exec_lo, s9
	s_cbranch_execnz .LBB0_556
.LBB0_557:
	s_or_b32 exec_lo, exec_lo, s8
	v_mov_b32_e32 v11, 0
	s_mov_b32 s9, exec_lo
	s_mov_b32 s8, exec_lo
	v_mbcnt_lo_u32_b32 v9, s9, 0
	global_load_b64 v[6:7], v11, s[4:5] offset:16
	s_wait_xcnt 0x0
	v_cmpx_eq_u32_e32 0, v9
	s_cbranch_execz .LBB0_559
; %bb.558:
	s_bcnt1_i32_b32 s9, s9
	s_delay_alu instid0(SALU_CYCLE_1)
	v_mov_b32_e32 v10, s9
	global_wb scope:SCOPE_SYS
	s_wait_loadcnt 0x0
	s_wait_storecnt 0x0
	global_atomic_add_u64 v[6:7], v[10:11], off offset:8 scope:SCOPE_SYS
.LBB0_559:
	s_wait_xcnt 0x0
	s_or_b32 exec_lo, exec_lo, s8
	s_wait_loadcnt 0x0
	global_load_b64 v[10:11], v[6:7], off offset:16
	s_wait_loadcnt 0x0
	v_cmp_eq_u64_e32 vcc_lo, 0, v[10:11]
	s_cbranch_vccnz .LBB0_561
; %bb.560:
	global_load_b32 v6, v[6:7], off offset:24
	s_wait_xcnt 0x0
	v_mov_b32_e32 v7, 0
	s_wait_loadcnt 0x0
	v_readfirstlane_b32 s8, v6
	global_wb scope:SCOPE_SYS
	s_wait_storecnt 0x0
	global_store_b64 v[10:11], v[6:7], off scope:SCOPE_SYS
	s_and_b32 m0, s8, 0xffffff
	s_sendmsg sendmsg(MSG_INTERRUPT)
.LBB0_561:
	s_wait_xcnt 0x0
	s_or_b32 exec_lo, exec_lo, s2
	v_add_nc_u64_e32 v[6:7], v[14:15], v[4:5]
	s_branch .LBB0_565
.LBB0_562:                              ;   in Loop: Header=BB0_565 Depth=1
	s_wait_xcnt 0x0
	s_or_b32 exec_lo, exec_lo, s2
	s_delay_alu instid0(VALU_DEP_1)
	v_readfirstlane_b32 s2, v5
	s_cmp_eq_u32 s2, 0
	s_cbranch_scc1 .LBB0_564
; %bb.563:                              ;   in Loop: Header=BB0_565 Depth=1
	s_sleep 1
	s_cbranch_execnz .LBB0_565
	s_branch .LBB0_567
.LBB0_564:
	s_branch .LBB0_567
.LBB0_565:                              ; =>This Inner Loop Header: Depth=1
	v_mov_b32_e32 v5, 1
	s_and_saveexec_b32 s2, s3
	s_cbranch_execz .LBB0_562
; %bb.566:                              ;   in Loop: Header=BB0_565 Depth=1
	global_load_b32 v5, v[0:1], off offset:20 scope:SCOPE_SYS
	s_wait_loadcnt 0x0
	global_inv scope:SCOPE_SYS
	v_and_b32_e32 v5, 1, v5
	s_branch .LBB0_562
.LBB0_567:
	global_load_b64 v[0:1], v[6:7], off
	s_wait_xcnt 0x0
	s_and_saveexec_b32 s8, s3
	s_cbranch_execz .LBB0_571
; %bb.568:
	v_mov_b32_e32 v5, 0
	s_clause 0x2
	global_load_b64 v[6:7], v5, s[4:5] offset:40
	global_load_b64 v[14:15], v5, s[4:5] offset:24 scope:SCOPE_SYS
	global_load_b64 v[10:11], v5, s[4:5]
	s_wait_loadcnt 0x2
	v_readfirstlane_b32 s10, v6
	v_readfirstlane_b32 s11, v7
	s_add_nc_u64 s[2:3], s[10:11], 1
	s_delay_alu instid0(SALU_CYCLE_1) | instskip(NEXT) | instid1(SALU_CYCLE_1)
	s_add_nc_u64 s[6:7], s[2:3], s[6:7]
	s_cmp_eq_u64 s[6:7], 0
	s_cselect_b32 s3, s3, s7
	s_cselect_b32 s2, s2, s6
	v_mov_b32_e32 v13, s3
	s_and_b64 s[6:7], s[2:3], s[10:11]
	v_mov_b32_e32 v12, s2
	s_mul_u64 s[6:7], s[6:7], 24
	s_wait_loadcnt 0x0
	v_add_nc_u64_e32 v[6:7], s[6:7], v[10:11]
	global_store_b64 v[6:7], v[14:15], off
	global_wb scope:SCOPE_SYS
	s_wait_storecnt 0x0
	s_wait_xcnt 0x0
	global_atomic_cmpswap_b64 v[12:13], v5, v[12:15], s[4:5] offset:24 th:TH_ATOMIC_RETURN scope:SCOPE_SYS
	s_wait_loadcnt 0x0
	v_cmp_ne_u64_e32 vcc_lo, v[12:13], v[14:15]
	s_and_b32 exec_lo, exec_lo, vcc_lo
	s_cbranch_execz .LBB0_571
; %bb.569:
	s_mov_b32 s6, 0
.LBB0_570:                              ; =>This Inner Loop Header: Depth=1
	v_dual_mov_b32 v10, s2 :: v_dual_mov_b32 v11, s3
	s_sleep 1
	global_store_b64 v[6:7], v[12:13], off
	global_wb scope:SCOPE_SYS
	s_wait_storecnt 0x0
	s_wait_xcnt 0x0
	global_atomic_cmpswap_b64 v[10:11], v5, v[10:13], s[4:5] offset:24 th:TH_ATOMIC_RETURN scope:SCOPE_SYS
	s_wait_loadcnt 0x0
	v_cmp_eq_u64_e32 vcc_lo, v[10:11], v[12:13]
	v_mov_b64_e32 v[12:13], v[10:11]
	s_or_b32 s6, vcc_lo, s6
	s_delay_alu instid0(SALU_CYCLE_1)
	s_and_not1_b32 exec_lo, exec_lo, s6
	s_cbranch_execnz .LBB0_570
.LBB0_571:
	s_or_b32 exec_lo, exec_lo, s8
	v_readfirstlane_b32 s2, v32
	v_mov_b64_e32 v[6:7], 0
	s_delay_alu instid0(VALU_DEP_2)
	v_cmp_eq_u32_e64 s2, s2, v32
	s_and_saveexec_b32 s3, s2
	s_cbranch_execz .LBB0_577
; %bb.572:
	v_mov_b32_e32 v5, 0
	s_mov_b32 s6, exec_lo
	global_load_b64 v[12:13], v5, s[4:5] offset:24 scope:SCOPE_SYS
	s_wait_loadcnt 0x0
	global_inv scope:SCOPE_SYS
	s_clause 0x1
	global_load_b64 v[6:7], v5, s[4:5] offset:40
	global_load_b64 v[10:11], v5, s[4:5]
	s_wait_loadcnt 0x1
	v_and_b32_e32 v6, v6, v12
	v_and_b32_e32 v7, v7, v13
	s_delay_alu instid0(VALU_DEP_1) | instskip(SKIP_1) | instid1(VALU_DEP_1)
	v_mul_u64_e32 v[6:7], 24, v[6:7]
	s_wait_loadcnt 0x0
	v_add_nc_u64_e32 v[6:7], v[10:11], v[6:7]
	global_load_b64 v[10:11], v[6:7], off scope:SCOPE_SYS
	s_wait_xcnt 0x0
	s_wait_loadcnt 0x0
	global_atomic_cmpswap_b64 v[6:7], v5, v[10:13], s[4:5] offset:24 th:TH_ATOMIC_RETURN scope:SCOPE_SYS
	s_wait_loadcnt 0x0
	global_inv scope:SCOPE_SYS
	s_wait_xcnt 0x0
	v_cmpx_ne_u64_e64 v[6:7], v[12:13]
	s_cbranch_execz .LBB0_576
; %bb.573:
	s_mov_b32 s7, 0
.LBB0_574:                              ; =>This Inner Loop Header: Depth=1
	s_sleep 1
	s_clause 0x1
	global_load_b64 v[10:11], v5, s[4:5] offset:40
	global_load_b64 v[14:15], v5, s[4:5]
	v_mov_b64_e32 v[12:13], v[6:7]
	s_wait_loadcnt 0x1
	s_delay_alu instid0(VALU_DEP_1) | instskip(NEXT) | instid1(VALU_DEP_2)
	v_and_b32_e32 v6, v10, v12
	v_and_b32_e32 v9, v11, v13
	s_wait_loadcnt 0x0
	s_delay_alu instid0(VALU_DEP_2) | instskip(NEXT) | instid1(VALU_DEP_1)
	v_mad_nc_u64_u32 v[6:7], v6, 24, v[14:15]
	v_mad_u32 v7, v9, 24, v7
	global_load_b64 v[10:11], v[6:7], off scope:SCOPE_SYS
	s_wait_xcnt 0x0
	s_wait_loadcnt 0x0
	global_atomic_cmpswap_b64 v[6:7], v5, v[10:13], s[4:5] offset:24 th:TH_ATOMIC_RETURN scope:SCOPE_SYS
	s_wait_loadcnt 0x0
	global_inv scope:SCOPE_SYS
	v_cmp_eq_u64_e32 vcc_lo, v[6:7], v[12:13]
	s_or_b32 s7, vcc_lo, s7
	s_wait_xcnt 0x0
	s_and_not1_b32 exec_lo, exec_lo, s7
	s_cbranch_execnz .LBB0_574
; %bb.575:
	s_or_b32 exec_lo, exec_lo, s7
.LBB0_576:
	s_delay_alu instid0(SALU_CYCLE_1)
	s_or_b32 exec_lo, exec_lo, s6
.LBB0_577:
	s_delay_alu instid0(SALU_CYCLE_1)
	s_or_b32 exec_lo, exec_lo, s3
	v_readfirstlane_b32 s6, v6
	v_mov_b32_e32 v15, 0
	v_readfirstlane_b32 s7, v7
	s_mov_b32 s3, exec_lo
	s_clause 0x1
	global_load_b64 v[16:17], v15, s[4:5] offset:40
	global_load_b128 v[10:13], v15, s[4:5]
	s_wait_loadcnt 0x1
	v_and_b32_e32 v6, s6, v16
	v_and_b32_e32 v7, s7, v17
	s_delay_alu instid0(VALU_DEP_1) | instskip(SKIP_1) | instid1(VALU_DEP_1)
	v_mul_u64_e32 v[16:17], 24, v[6:7]
	s_wait_loadcnt 0x0
	v_add_nc_u64_e32 v[18:19], v[10:11], v[16:17]
	s_wait_xcnt 0x0
	s_and_saveexec_b32 s8, s2
	s_cbranch_execz .LBB0_579
; %bb.578:
	v_mov_b64_e32 v[16:17], 0x100000002
	v_mov_b32_e32 v14, s3
	global_store_b128 v[18:19], v[14:17], off offset:8
.LBB0_579:
	s_wait_xcnt 0x0
	s_or_b32 exec_lo, exec_lo, s8
	v_lshlrev_b64_e32 v[6:7], 12, v[6:7]
	s_mov_b32 s8, 0
	v_and_or_b32 v0, 0xffffff1d, v0, 34
	s_mov_b32 s10, s8
	s_mov_b32 s11, s8
	;; [unrolled: 1-line block ×3, first 2 shown]
	s_delay_alu instid0(VALU_DEP_2) | instskip(SKIP_2) | instid1(VALU_DEP_3)
	v_add_nc_u64_e32 v[6:7], v[12:13], v[6:7]
	v_mov_b64_e32 v[14:15], s[10:11]
	v_mov_b64_e32 v[12:13], s[8:9]
	v_readfirstlane_b32 s12, v6
	s_delay_alu instid0(VALU_DEP_4)
	v_readfirstlane_b32 s13, v7
	s_clause 0x3
	global_store_b128 v4, v[0:3], s[12:13]
	global_store_b128 v4, v[12:15], s[12:13] offset:16
	global_store_b128 v4, v[12:15], s[12:13] offset:32
	;; [unrolled: 1-line block ×3, first 2 shown]
	s_wait_xcnt 0x0
	s_and_saveexec_b32 s3, s2
	s_cbranch_execz .LBB0_587
; %bb.580:
	v_mov_b32_e32 v3, 0
	s_mov_b32 s8, exec_lo
	s_clause 0x1
	global_load_b64 v[12:13], v3, s[4:5] offset:32 scope:SCOPE_SYS
	global_load_b64 v[0:1], v3, s[4:5] offset:40
	s_wait_loadcnt 0x0
	v_and_b32_e32 v0, s6, v0
	v_and_b32_e32 v1, s7, v1
	s_delay_alu instid0(VALU_DEP_1) | instskip(NEXT) | instid1(VALU_DEP_1)
	v_mul_u64_e32 v[0:1], 24, v[0:1]
	v_add_nc_u64_e32 v[0:1], v[10:11], v[0:1]
	v_dual_mov_b32 v10, s6 :: v_dual_mov_b32 v11, s7
	global_store_b64 v[0:1], v[12:13], off
	global_wb scope:SCOPE_SYS
	s_wait_storecnt 0x0
	s_wait_xcnt 0x0
	global_atomic_cmpswap_b64 v[6:7], v3, v[10:13], s[4:5] offset:32 th:TH_ATOMIC_RETURN scope:SCOPE_SYS
	s_wait_loadcnt 0x0
	v_cmpx_ne_u64_e64 v[6:7], v[12:13]
	s_cbranch_execz .LBB0_583
; %bb.581:
	s_mov_b32 s9, 0
.LBB0_582:                              ; =>This Inner Loop Header: Depth=1
	v_dual_mov_b32 v4, s6 :: v_dual_mov_b32 v5, s7
	s_sleep 1
	global_store_b64 v[0:1], v[6:7], off
	global_wb scope:SCOPE_SYS
	s_wait_storecnt 0x0
	s_wait_xcnt 0x0
	global_atomic_cmpswap_b64 v[4:5], v3, v[4:7], s[4:5] offset:32 th:TH_ATOMIC_RETURN scope:SCOPE_SYS
	s_wait_loadcnt 0x0
	v_cmp_eq_u64_e32 vcc_lo, v[4:5], v[6:7]
	v_mov_b64_e32 v[6:7], v[4:5]
	s_or_b32 s9, vcc_lo, s9
	s_delay_alu instid0(SALU_CYCLE_1)
	s_and_not1_b32 exec_lo, exec_lo, s9
	s_cbranch_execnz .LBB0_582
.LBB0_583:
	s_or_b32 exec_lo, exec_lo, s8
	v_mov_b32_e32 v5, 0
	s_mov_b32 s9, exec_lo
	s_mov_b32 s8, exec_lo
	v_mbcnt_lo_u32_b32 v3, s9, 0
	global_load_b64 v[0:1], v5, s[4:5] offset:16
	s_wait_xcnt 0x0
	v_cmpx_eq_u32_e32 0, v3
	s_cbranch_execz .LBB0_585
; %bb.584:
	s_bcnt1_i32_b32 s9, s9
	s_delay_alu instid0(SALU_CYCLE_1)
	v_mov_b32_e32 v4, s9
	global_wb scope:SCOPE_SYS
	s_wait_loadcnt 0x0
	s_wait_storecnt 0x0
	global_atomic_add_u64 v[0:1], v[4:5], off offset:8 scope:SCOPE_SYS
.LBB0_585:
	s_wait_xcnt 0x0
	s_or_b32 exec_lo, exec_lo, s8
	s_wait_loadcnt 0x0
	global_load_b64 v[4:5], v[0:1], off offset:16
	s_wait_loadcnt 0x0
	v_cmp_eq_u64_e32 vcc_lo, 0, v[4:5]
	s_cbranch_vccnz .LBB0_587
; %bb.586:
	global_load_b32 v0, v[0:1], off offset:24
	s_wait_xcnt 0x0
	v_mov_b32_e32 v1, 0
	s_wait_loadcnt 0x0
	v_readfirstlane_b32 s8, v0
	global_wb scope:SCOPE_SYS
	s_wait_storecnt 0x0
	global_store_b64 v[4:5], v[0:1], off scope:SCOPE_SYS
	s_and_b32 m0, s8, 0xffffff
	s_sendmsg sendmsg(MSG_INTERRUPT)
.LBB0_587:
	s_wait_xcnt 0x0
	s_or_b32 exec_lo, exec_lo, s3
	s_branch .LBB0_591
.LBB0_588:                              ;   in Loop: Header=BB0_591 Depth=1
	s_wait_xcnt 0x0
	s_or_b32 exec_lo, exec_lo, s3
	s_delay_alu instid0(VALU_DEP_1)
	v_readfirstlane_b32 s3, v0
	s_cmp_eq_u32 s3, 0
	s_cbranch_scc1 .LBB0_590
; %bb.589:                              ;   in Loop: Header=BB0_591 Depth=1
	s_sleep 1
	s_cbranch_execnz .LBB0_591
	s_branch .LBB0_593
.LBB0_590:
	s_branch .LBB0_593
.LBB0_591:                              ; =>This Inner Loop Header: Depth=1
	v_mov_b32_e32 v0, 1
	s_and_saveexec_b32 s3, s2
	s_cbranch_execz .LBB0_588
; %bb.592:                              ;   in Loop: Header=BB0_591 Depth=1
	global_load_b32 v0, v[18:19], off offset:20 scope:SCOPE_SYS
	s_wait_loadcnt 0x0
	global_inv scope:SCOPE_SYS
	v_and_b32_e32 v0, 1, v0
	s_branch .LBB0_588
.LBB0_593:
	s_and_saveexec_b32 s8, s2
	s_cbranch_execz .LBB0_597
; %bb.594:
	v_mov_b32_e32 v3, 0
	s_clause 0x2
	global_load_b64 v[0:1], v3, s[4:5] offset:40
	global_load_b64 v[12:13], v3, s[4:5] offset:24 scope:SCOPE_SYS
	global_load_b64 v[4:5], v3, s[4:5]
	s_wait_loadcnt 0x2
	v_readfirstlane_b32 s10, v0
	v_readfirstlane_b32 s11, v1
	s_add_nc_u64 s[2:3], s[10:11], 1
	s_delay_alu instid0(SALU_CYCLE_1) | instskip(NEXT) | instid1(SALU_CYCLE_1)
	s_add_nc_u64 s[6:7], s[2:3], s[6:7]
	s_cmp_eq_u64 s[6:7], 0
	s_cselect_b32 s3, s3, s7
	s_cselect_b32 s2, s2, s6
	v_mov_b32_e32 v11, s3
	s_and_b64 s[6:7], s[2:3], s[10:11]
	v_mov_b32_e32 v10, s2
	s_mul_u64 s[6:7], s[6:7], 24
	s_wait_loadcnt 0x0
	v_add_nc_u64_e32 v[0:1], s[6:7], v[4:5]
	global_store_b64 v[0:1], v[12:13], off
	global_wb scope:SCOPE_SYS
	s_wait_storecnt 0x0
	s_wait_xcnt 0x0
	global_atomic_cmpswap_b64 v[6:7], v3, v[10:13], s[4:5] offset:24 th:TH_ATOMIC_RETURN scope:SCOPE_SYS
	s_wait_loadcnt 0x0
	v_cmp_ne_u64_e32 vcc_lo, v[6:7], v[12:13]
	s_and_b32 exec_lo, exec_lo, vcc_lo
	s_cbranch_execz .LBB0_597
; %bb.595:
	s_mov_b32 s6, 0
.LBB0_596:                              ; =>This Inner Loop Header: Depth=1
	v_dual_mov_b32 v4, s2 :: v_dual_mov_b32 v5, s3
	s_sleep 1
	global_store_b64 v[0:1], v[6:7], off
	global_wb scope:SCOPE_SYS
	s_wait_storecnt 0x0
	s_wait_xcnt 0x0
	global_atomic_cmpswap_b64 v[4:5], v3, v[4:7], s[4:5] offset:24 th:TH_ATOMIC_RETURN scope:SCOPE_SYS
	s_wait_loadcnt 0x0
	v_cmp_eq_u64_e32 vcc_lo, v[4:5], v[6:7]
	v_mov_b64_e32 v[6:7], v[4:5]
	s_or_b32 s6, vcc_lo, s6
	s_delay_alu instid0(SALU_CYCLE_1)
	s_and_not1_b32 exec_lo, exec_lo, s6
	s_cbranch_execnz .LBB0_596
.LBB0_597:
	s_or_b32 exec_lo, exec_lo, s8
	v_mul_lo_u32 v0, v33, s24
	s_load_b64 s[0:1], s[0:1], 0x8
	s_delay_alu instid0(VALU_DEP_1) | instskip(NEXT) | instid1(VALU_DEP_1)
	v_dual_add_nc_u32 v1, 1, v33 :: v_dual_sub_nc_u32 v0, v2, v0
	v_subrev_nc_u32_e32 v2, s24, v0
	v_cmp_le_u32_e32 vcc_lo, s24, v0
	s_delay_alu instid0(VALU_DEP_2) | instskip(NEXT) | instid1(VALU_DEP_1)
	v_dual_cndmask_b32 v1, v33, v1 :: v_dual_cndmask_b32 v0, v0, v2
	v_add_nc_u32_e32 v2, 1, v1
	s_delay_alu instid0(VALU_DEP_2) | instskip(NEXT) | instid1(VALU_DEP_2)
	v_cmp_le_u32_e32 vcc_lo, s24, v0
	v_cndmask_b32_e32 v0, v1, v2, vcc_lo
	s_wait_kmcnt 0x0
	global_store_b32 v0, v8, s[0:1] scale_offset
.LBB0_598:
	s_wait_xcnt 0x0
	s_or_b32 exec_lo, exec_lo, s19
.LBB0_599:
	s_delay_alu instid0(SALU_CYCLE_1)
	s_and_b32 vcc_lo, exec_lo, s18
	s_cbranch_vccnz .LBB0_601
; %bb.600:
	s_endpgm
.LBB0_601:
	s_trap 2
	; divergent unreachable
	s_endpgm
	.section	.rodata,"a",@progbits
	.p2align	6, 0x0
	.amdhsa_kernel _Z33kernel_cg_group_partition_dynamicjPibS_
		.amdhsa_group_segment_fixed_size 0
		.amdhsa_private_segment_fixed_size 0
		.amdhsa_kernarg_size 288
		.amdhsa_user_sgpr_count 2
		.amdhsa_user_sgpr_dispatch_ptr 0
		.amdhsa_user_sgpr_queue_ptr 0
		.amdhsa_user_sgpr_kernarg_segment_ptr 1
		.amdhsa_user_sgpr_dispatch_id 0
		.amdhsa_user_sgpr_kernarg_preload_length 0
		.amdhsa_user_sgpr_kernarg_preload_offset 0
		.amdhsa_user_sgpr_private_segment_size 0
		.amdhsa_wavefront_size32 1
		.amdhsa_uses_dynamic_stack 0
		.amdhsa_enable_private_segment 0
		.amdhsa_system_sgpr_workgroup_id_x 1
		.amdhsa_system_sgpr_workgroup_id_y 0
		.amdhsa_system_sgpr_workgroup_id_z 0
		.amdhsa_system_sgpr_workgroup_info 0
		.amdhsa_system_vgpr_workitem_id 2
		.amdhsa_next_free_vgpr 40
		.amdhsa_next_free_sgpr 28
		.amdhsa_named_barrier_count 0
		.amdhsa_reserve_vcc 1
		.amdhsa_float_round_mode_32 0
		.amdhsa_float_round_mode_16_64 0
		.amdhsa_float_denorm_mode_32 3
		.amdhsa_float_denorm_mode_16_64 3
		.amdhsa_fp16_overflow 0
		.amdhsa_memory_ordered 1
		.amdhsa_forward_progress 1
		.amdhsa_inst_pref_size 211
		.amdhsa_round_robin_scheduling 0
		.amdhsa_exception_fp_ieee_invalid_op 0
		.amdhsa_exception_fp_denorm_src 0
		.amdhsa_exception_fp_ieee_div_zero 0
		.amdhsa_exception_fp_ieee_overflow 0
		.amdhsa_exception_fp_ieee_underflow 0
		.amdhsa_exception_fp_ieee_inexact 0
		.amdhsa_exception_int_div_zero 0
	.end_amdhsa_kernel
	.text
.Lfunc_end0:
	.size	_Z33kernel_cg_group_partition_dynamicjPibS_, .Lfunc_end0-_Z33kernel_cg_group_partition_dynamicjPibS_
                                        ; -- End function
	.set _Z33kernel_cg_group_partition_dynamicjPibS_.num_vgpr, 40
	.set _Z33kernel_cg_group_partition_dynamicjPibS_.num_agpr, 0
	.set _Z33kernel_cg_group_partition_dynamicjPibS_.numbered_sgpr, 28
	.set _Z33kernel_cg_group_partition_dynamicjPibS_.num_named_barrier, 0
	.set _Z33kernel_cg_group_partition_dynamicjPibS_.private_seg_size, 0
	.set _Z33kernel_cg_group_partition_dynamicjPibS_.uses_vcc, 1
	.set _Z33kernel_cg_group_partition_dynamicjPibS_.uses_flat_scratch, 0
	.set _Z33kernel_cg_group_partition_dynamicjPibS_.has_dyn_sized_stack, 0
	.set _Z33kernel_cg_group_partition_dynamicjPibS_.has_recursion, 0
	.set _Z33kernel_cg_group_partition_dynamicjPibS_.has_indirect_call, 0
	.section	.AMDGPU.csdata,"",@progbits
; Kernel info:
; codeLenInByte = 26912
; TotalNumSgprs: 30
; NumVgprs: 40
; ScratchSize: 0
; MemoryBound: 0
; FloatMode: 240
; IeeeMode: 1
; LDSByteSize: 0 bytes/workgroup (compile time only)
; SGPRBlocks: 0
; VGPRBlocks: 2
; NumSGPRsForWavesPerEU: 30
; NumVGPRsForWavesPerEU: 40
; NamedBarCnt: 0
; Occupancy: 16
; WaveLimiterHint : 1
; COMPUTE_PGM_RSRC2:SCRATCH_EN: 0
; COMPUTE_PGM_RSRC2:USER_SGPR: 2
; COMPUTE_PGM_RSRC2:TRAP_HANDLER: 0
; COMPUTE_PGM_RSRC2:TGID_X_EN: 1
; COMPUTE_PGM_RSRC2:TGID_Y_EN: 0
; COMPUTE_PGM_RSRC2:TGID_Z_EN: 0
; COMPUTE_PGM_RSRC2:TIDIG_COMP_CNT: 2
	.text
	.protected	_Z32kernel_cg_group_partition_nestedjjPibS_ ; -- Begin function _Z32kernel_cg_group_partition_nestedjjPibS_
	.globl	_Z32kernel_cg_group_partition_nestedjjPibS_
	.p2align	8
	.type	_Z32kernel_cg_group_partition_nestedjjPibS_,@function
_Z32kernel_cg_group_partition_nestedjjPibS_: ; @_Z32kernel_cg_group_partition_nestedjjPibS_
; %bb.0:
	s_load_b64 s[6:7], s[0:1], 0x0
	s_mov_b32 s3, 0
	s_wait_kmcnt 0x0
	s_cmp_eq_u32 s6, 0
	s_cselect_b32 s2, -1, 0
	s_delay_alu instid0(SALU_CYCLE_1)
	s_and_b32 vcc_lo, exec_lo, s2
	s_cbranch_vccnz .LBB1_277
; %bb.1:
	s_add_co_i32 s8, s6, -1
	s_delay_alu instid0(SALU_CYCLE_1) | instskip(NEXT) | instid1(SALU_CYCLE_1)
	s_and_b32 s2, s6, s8
	s_cmp_eq_u32 s2, 0
	s_cselect_b32 s2, -1, 0
	s_cmp_lt_u32 s6, 33
	s_cselect_b32 s3, -1, 0
	s_delay_alu instid0(SALU_CYCLE_1)
	s_and_b32 s3, s3, s2
	s_mov_b32 s2, -1
	s_and_b32 vcc_lo, exec_lo, s3
	s_mov_b32 s3, 0
	s_cbranch_vccz .LBB1_277
; %bb.2:
	s_cvt_f32_u32 s2, s6
	s_cmp_eq_u32 s7, 0
	s_cselect_b32 s18, -1, 0
	s_delay_alu instid0(SALU_CYCLE_1) | instskip(SKIP_2) | instid1(TRANS32_DEP_1)
	v_rcp_iflag_f32_e32 v1, s2
	s_cmp_lg_u32 s7, 0
	v_nop
	v_readfirstlane_b32 s2, v1
	s_cbranch_scc0 .LBB1_275
; %bb.3:
	s_add_co_i32 s4, s7, -1
	s_mov_b32 s18, -1
	s_and_b32 s4, s7, s4
	s_delay_alu instid0(SALU_CYCLE_1) | instskip(SKIP_3) | instid1(SALU_CYCLE_1)
	s_cmp_eq_u32 s4, 0
	s_cselect_b32 s4, -1, 0
	s_cmp_lt_u32 s7, 33
	s_cselect_b32 s5, -1, 0
	s_and_b32 s4, s5, s4
	s_delay_alu instid0(SALU_CYCLE_1)
	s_and_b32 vcc_lo, exec_lo, s4
	s_cbranch_vccz .LBB1_275
; %bb.4:
	s_load_b64 s[4:5], s[0:1], 0x2c
	s_mul_f32 s2, s2, 0x4f7ffffe
	s_sub_co_i32 s9, 0, s6
	s_mov_b32 s11, s3
	v_bfe_u32 v1, v0, 10, 10
	s_cvt_u32_f32 s2, s2
	v_bfe_u32 v2, v0, 20, 10
	v_and_b32_e32 v0, 0x3ff, v0
	v_mov_b32_e32 v5, 0
	s_mul_i32 s9, s9, s2
	s_delay_alu instid0(SALU_CYCLE_1) | instskip(NEXT) | instid1(SALU_CYCLE_1)
	s_mul_hi_u32 s9, s2, s9
	s_add_co_i32 s2, s2, s9
	s_wait_kmcnt 0x0
	s_lshr_b32 s12, s4, 16
	s_and_b32 s13, s4, 0xffff
	s_and_b32 s4, s5, 0xffff
	s_mul_i32 s5, s12, s13
	v_mad_u32_u24 v1, v2, s12, v1
	s_mul_i32 s14, s5, s4
	s_delay_alu instid0(SALU_CYCLE_1) | instskip(NEXT) | instid1(SALU_CYCLE_1)
	s_add_co_i32 s10, s8, s14
	s_mul_u64 s[4:5], s[10:11], s[2:3]
	s_delay_alu instid0(VALU_DEP_1) | instskip(SKIP_3) | instid1(SALU_CYCLE_1)
	v_mad_u32 v0, v1, s13, v0
	s_mul_i32 s4, s5, s6
	s_add_co_i32 s9, s5, 1
	s_sub_co_i32 s4, s10, s4
	s_sub_co_i32 s10, s4, s6
	s_cmp_ge_u32 s4, s6
	s_cselect_b32 s5, s9, s5
	s_cselect_b32 s4, s10, s4
	s_add_co_i32 s9, s5, 1
	s_cmp_ge_u32 s4, s6
	s_delay_alu instid0(VALU_DEP_1) | instskip(SKIP_1) | instid1(SALU_CYCLE_1)
	v_mov_b32_e32 v3, v0
	s_cselect_b32 s4, s9, s5
	s_mul_i32 s4, s4, s6
	s_delay_alu instid0(SALU_CYCLE_1)
	s_sub_co_i32 s5, s4, s6
	s_sub_co_i32 s4, s14, s4
	v_cmp_le_u32_e32 vcc_lo, s5, v0
	s_cmp_gt_u32 s6, s7
	v_cndmask_b32_e64 v1, 0, s4, vcc_lo
	s_cselect_b32 s4, -1, 0
	s_min_u32 s5, s6, s7
	s_delay_alu instid0(VALU_DEP_1) | instskip(NEXT) | instid1(VALU_DEP_1)
	v_add_nc_u32_e32 v1, s6, v1
	v_cndmask_b32_e64 v10, v1, s7, s4
	s_add_co_i32 s4, s5, -1
	s_delay_alu instid0(SALU_CYCLE_1) | instskip(SKIP_1) | instid1(VALU_DEP_2)
	v_dual_mov_b32 v1, v5 :: v_dual_bitop2_b32 v2, s4, v0 bitop3:0x40
	s_mov_b32 s4, exec_lo
	v_cmpx_lt_u32_e32 1, v10
	s_cbranch_execz .LBB1_10
; %bb.5:
	s_clause 0x1
	s_load_b32 s9, s[0:1], 0x10
	s_load_b64 s[12:13], s[0:1], 0x18
	s_mov_b64 s[10:11], src_shared_base
	v_mov_b32_e32 v3, v5
	s_wait_kmcnt 0x0
	s_and_b32 s9, 1, s9
	s_cmp_lg_u32 0, -1
	s_cselect_b32 s10, 0, 0
	s_cselect_b32 s11, s11, 0
	s_cmp_eq_u32 s9, 1
	s_cselect_b32 s11, s13, s11
	s_cselect_b32 s10, s12, s10
	s_sub_co_i32 s5, 0, s5
	s_delay_alu instid0(SALU_CYCLE_1) | instskip(SKIP_1) | instid1(VALU_DEP_1)
	v_and_b32_e32 v6, s5, v0
	s_mov_b32 s5, 0
	v_ashrrev_i32_e32 v7, 31, v6
	s_delay_alu instid0(VALU_DEP_1) | instskip(NEXT) | instid1(VALU_DEP_1)
	v_lshl_add_u64 v[6:7], v[6:7], 2, s[10:11]
	v_lshl_add_u64 v[8:9], v[2:3], 2, v[6:7]
	v_mov_b32_e32 v3, v0
	s_branch .LBB1_7
.LBB1_6:                                ;   in Loop: Header=BB1_7 Depth=1
	s_wait_xcnt 0x0
	s_or_b32 exec_lo, exec_lo, s9
	v_cmp_gt_u32_e32 vcc_lo, 4, v10
	v_mov_b32_e32 v10, v11
	global_wb scope:SCOPE_DEV
	s_wait_loadcnt 0x0
	s_wait_storecnt 0x0
	global_inv scope:SCOPE_DEV
	s_or_b32 s5, vcc_lo, s5
	s_delay_alu instid0(SALU_CYCLE_1)
	s_and_not1_b32 exec_lo, exec_lo, s5
	s_cbranch_execz .LBB1_9
.LBB1_7:                                ; =>This Inner Loop Header: Depth=1
	v_lshrrev_b32_e32 v11, 1, v10
	s_mov_b32 s9, exec_lo
	flat_store_b32 v[8:9], v3
	global_wb scope:SCOPE_DEV
	s_wait_storecnt_dscnt 0x0
	global_inv scope:SCOPE_DEV
	s_wait_xcnt 0x0
	v_cmpx_lt_i32_e64 v2, v11
	s_cbranch_execz .LBB1_6
; %bb.8:                                ;   in Loop: Header=BB1_7 Depth=1
	v_add_nc_u32_e32 v4, v11, v2
	s_delay_alu instid0(VALU_DEP_1)
	v_lshl_add_u64 v[12:13], v[4:5], 2, v[6:7]
	flat_load_b32 v4, v[12:13]
	s_wait_loadcnt_dscnt 0x0
	v_add_nc_u32_e32 v3, v4, v3
	s_branch .LBB1_6
.LBB1_9:
	s_or_b32 exec_lo, exec_lo, s5
.LBB1_10:
	s_delay_alu instid0(SALU_CYCLE_1)
	s_or_b32 exec_lo, exec_lo, s4
	v_mul_u64_e32 v[4:5], s[2:3], v[0:1]
	v_cmp_eq_u32_e32 vcc_lo, 0, v2
	s_add_nc_u64 s[4:5], s[0:1], 32
	s_mov_b32 s18, 0
	s_and_saveexec_b32 s19, vcc_lo
	s_cbranch_execz .LBB1_274
; %bb.11:
	s_cvt_f32_u32 s2, s7
	s_delay_alu instid0(VALU_DEP_2) | instskip(SKIP_1) | instid1(SALU_CYCLE_1)
	v_mul_lo_u32 v2, v5, s6
	s_sub_co_i32 s9, 0, s7
	v_rcp_iflag_f32_e32 v1, s2
	v_nop
	s_delay_alu instid0(TRANS32_DEP_1) | instskip(NEXT) | instid1(VALU_DEP_3)
	v_readfirstlane_b32 s2, v1
	v_dual_sub_nc_u32 v0, v0, v2 :: v_dual_bitop2_b32 v1, s8, v0 bitop3:0x40
	s_mul_f32 s2, s2, 0x4f7ffffe
	s_delay_alu instid0(VALU_DEP_1) | instskip(NEXT) | instid1(SALU_CYCLE_2)
	v_subrev_nc_u32_e32 v7, s6, v0
	s_cvt_u32_f32 s2, s2
	s_delay_alu instid0(SALU_CYCLE_3) | instskip(NEXT) | instid1(SALU_CYCLE_1)
	s_mul_i32 s9, s9, s2
	s_mul_hi_u32 s8, s2, s9
	s_delay_alu instid0(SALU_CYCLE_1)
	s_add_co_i32 s10, s2, s8
	v_cmp_le_u32_e64 s2, s6, v0
	v_mul_hi_u32 v4, v1, s10
	v_add_nc_u32_e32 v6, 1, v5
	s_load_b64 s[8:9], s[0:1], 0x8
	s_wait_xcnt 0x0
	s_mul_hi_u32 s1, s6, s10
	v_cndmask_b32_e64 v0, v0, v7, s2
	s_mul_i32 s0, s1, s7
	v_cndmask_b32_e64 v5, v5, v6, s2
	s_sub_co_i32 s2, s6, s0
	s_add_co_i32 s10, s1, 1
	s_sub_co_i32 s11, s2, s7
	s_cmp_ge_u32 s2, s7
	v_mul_lo_u32 v2, v4, s7
	s_cselect_b32 s1, s10, s1
	s_cselect_b32 s2, s11, s2
	s_delay_alu instid0(VALU_DEP_1) | instskip(SKIP_1) | instid1(VALU_DEP_2)
	v_dual_sub_nc_u32 v1, v1, v2 :: v_dual_add_nc_u32 v2, 1, v4
	v_add_nc_u32_e32 v6, 1, v5
	v_subrev_nc_u32_e32 v7, s7, v1
	v_cmp_le_u32_e64 s0, s7, v1
	s_delay_alu instid0(VALU_DEP_1) | instskip(SKIP_1) | instid1(VALU_DEP_2)
	v_dual_cndmask_b32 v2, v4, v2, s0 :: v_dual_cndmask_b32 v1, v1, v7, s0
	v_cmp_le_u32_e64 s0, s6, v0
	v_add_nc_u32_e32 v4, 1, v2
	s_delay_alu instid0(VALU_DEP_2) | instskip(NEXT) | instid1(VALU_DEP_4)
	v_cndmask_b32_e64 v9, v5, v6, s0
	v_cmp_le_u32_e64 s0, s7, v1
	s_delay_alu instid0(VALU_DEP_1)
	v_cndmask_b32_e64 v8, v2, v4, s0
	s_add_co_i32 s0, s1, 1
	s_cmp_ge_u32 s2, s7
	v_cndmask_b32_e32 v2, -1, v3, vcc_lo
	s_cselect_b32 s0, s0, s1
	v_mbcnt_lo_u32_b32 v3, -1, 0
	v_mad_u32 v0, s0, v9, v8
	s_delay_alu instid0(VALU_DEP_2) | instskip(NEXT) | instid1(VALU_DEP_1)
	v_readfirstlane_b32 s0, v3
	v_cmp_eq_u32_e64 s0, s0, v3
	s_wait_kmcnt 0x0
	global_store_b32 v0, v2, s[8:9] scale_offset
	s_load_b64 s[4:5], s[4:5], 0x50
	v_mov_b64_e32 v[0:1], 0
	s_and_saveexec_b32 s1, s0
	s_cbranch_execz .LBB1_17
; %bb.12:
	v_mov_b32_e32 v4, 0
	s_mov_b32 s2, exec_lo
	s_wait_kmcnt 0x0
	global_load_b64 v[12:13], v4, s[4:5] offset:24 scope:SCOPE_SYS
	s_wait_loadcnt 0x0
	global_inv scope:SCOPE_SYS
	s_clause 0x1
	global_load_b64 v[0:1], v4, s[4:5] offset:40
	global_load_b64 v[6:7], v4, s[4:5]
	s_wait_loadcnt 0x1
	v_and_b32_e32 v0, v0, v12
	v_and_b32_e32 v1, v1, v13
	s_delay_alu instid0(VALU_DEP_1) | instskip(SKIP_1) | instid1(VALU_DEP_1)
	v_mul_u64_e32 v[0:1], 24, v[0:1]
	s_wait_loadcnt 0x0
	v_add_nc_u64_e32 v[0:1], v[6:7], v[0:1]
	global_load_b64 v[10:11], v[0:1], off scope:SCOPE_SYS
	s_wait_xcnt 0x0
	s_wait_loadcnt 0x0
	global_atomic_cmpswap_b64 v[0:1], v4, v[10:13], s[4:5] offset:24 th:TH_ATOMIC_RETURN scope:SCOPE_SYS
	s_wait_loadcnt 0x0
	global_inv scope:SCOPE_SYS
	s_wait_xcnt 0x0
	v_cmpx_ne_u64_e64 v[0:1], v[12:13]
	s_cbranch_execz .LBB1_16
; %bb.13:
	s_mov_b32 s8, 0
.LBB1_14:                               ; =>This Inner Loop Header: Depth=1
	s_sleep 1
	s_clause 0x1
	global_load_b64 v[6:7], v4, s[4:5] offset:40
	global_load_b64 v[10:11], v4, s[4:5]
	v_mov_b64_e32 v[12:13], v[0:1]
	s_wait_loadcnt 0x1
	s_delay_alu instid0(VALU_DEP_1) | instskip(NEXT) | instid1(VALU_DEP_2)
	v_and_b32_e32 v0, v6, v12
	v_and_b32_e32 v5, v7, v13
	s_wait_loadcnt 0x0
	s_delay_alu instid0(VALU_DEP_2) | instskip(NEXT) | instid1(VALU_DEP_1)
	v_mad_nc_u64_u32 v[0:1], v0, 24, v[10:11]
	v_mad_u32 v1, v5, 24, v1
	global_load_b64 v[10:11], v[0:1], off scope:SCOPE_SYS
	s_wait_xcnt 0x0
	s_wait_loadcnt 0x0
	global_atomic_cmpswap_b64 v[0:1], v4, v[10:13], s[4:5] offset:24 th:TH_ATOMIC_RETURN scope:SCOPE_SYS
	s_wait_loadcnt 0x0
	global_inv scope:SCOPE_SYS
	v_cmp_eq_u64_e32 vcc_lo, v[0:1], v[12:13]
	s_or_b32 s8, vcc_lo, s8
	s_wait_xcnt 0x0
	s_and_not1_b32 exec_lo, exec_lo, s8
	s_cbranch_execnz .LBB1_14
; %bb.15:
	s_or_b32 exec_lo, exec_lo, s8
.LBB1_16:
	s_delay_alu instid0(SALU_CYCLE_1)
	s_or_b32 exec_lo, exec_lo, s2
.LBB1_17:
	s_delay_alu instid0(SALU_CYCLE_1) | instskip(NEXT) | instid1(VALU_DEP_1)
	s_or_b32 exec_lo, exec_lo, s1
	v_readfirstlane_b32 s8, v0
	v_mov_b32_e32 v5, 0
	s_delay_alu instid0(VALU_DEP_3)
	v_readfirstlane_b32 s9, v1
	s_mov_b32 s1, exec_lo
	s_wait_kmcnt 0x0
	s_clause 0x1
	global_load_b64 v[6:7], v5, s[4:5] offset:40
	global_load_b128 v[10:13], v5, s[4:5]
	s_wait_loadcnt 0x1
	v_and_b32_e32 v14, s8, v6
	v_and_b32_e32 v15, s9, v7
	s_delay_alu instid0(VALU_DEP_1) | instskip(SKIP_1) | instid1(VALU_DEP_1)
	v_mul_u64_e32 v[0:1], 24, v[14:15]
	s_wait_loadcnt 0x0
	v_add_nc_u64_e32 v[0:1], v[10:11], v[0:1]
	s_wait_xcnt 0x0
	s_and_saveexec_b32 s2, s0
	s_cbranch_execz .LBB1_19
; %bb.18:
	v_mov_b64_e32 v[6:7], 0x100000002
	v_mov_b32_e32 v4, s1
	global_store_b128 v[0:1], v[4:7], off offset:8
.LBB1_19:
	s_wait_xcnt 0x0
	s_or_b32 exec_lo, exec_lo, s2
	v_lshlrev_b64_e32 v[6:7], 12, v[14:15]
	s_mov_b32 s12, 0
	v_dual_lshlrev_b32 v4, 6, v3 :: v_dual_mov_b32 v14, 33
	s_mov_b32 s14, s12
	s_mov_b32 s15, s12
	;; [unrolled: 1-line block ×3, first 2 shown]
	s_delay_alu instid0(VALU_DEP_2)
	v_add_nc_u64_e32 v[6:7], v[12:13], v[6:7]
	v_mov_b64_e32 v[20:21], s[14:15]
	v_mov_b64_e32 v[18:19], s[12:13]
	v_dual_mov_b32 v15, v5 :: v_dual_mov_b32 v16, v5
	v_mov_b32_e32 v17, v5
	v_readfirstlane_b32 s10, v6
	v_readfirstlane_b32 s11, v7
	s_clause 0x3
	global_store_b128 v4, v[14:17], s[10:11]
	global_store_b128 v4, v[18:21], s[10:11] offset:16
	global_store_b128 v4, v[18:21], s[10:11] offset:32
	global_store_b128 v4, v[18:21], s[10:11] offset:48
	s_wait_xcnt 0x0
	s_and_saveexec_b32 s1, s0
	s_cbranch_execz .LBB1_27
; %bb.20:
	v_dual_mov_b32 v16, 0 :: v_dual_mov_b32 v19, s9
	s_mov_b32 s2, exec_lo
	s_clause 0x1
	global_load_b64 v[20:21], v16, s[4:5] offset:32 scope:SCOPE_SYS
	global_load_b64 v[12:13], v16, s[4:5] offset:40
	s_wait_loadcnt 0x0
	v_dual_mov_b32 v18, s8 :: v_dual_bitop2_b32 v13, s9, v13 bitop3:0x40
	v_and_b32_e32 v12, s8, v12
	s_delay_alu instid0(VALU_DEP_1) | instskip(NEXT) | instid1(VALU_DEP_1)
	v_mul_u64_e32 v[12:13], 24, v[12:13]
	v_add_nc_u64_e32 v[14:15], v[10:11], v[12:13]
	global_store_b64 v[14:15], v[20:21], off
	global_wb scope:SCOPE_SYS
	s_wait_storecnt 0x0
	s_wait_xcnt 0x0
	global_atomic_cmpswap_b64 v[12:13], v16, v[18:21], s[4:5] offset:32 th:TH_ATOMIC_RETURN scope:SCOPE_SYS
	s_wait_loadcnt 0x0
	v_cmpx_ne_u64_e64 v[12:13], v[20:21]
	s_cbranch_execz .LBB1_23
; %bb.21:
	s_mov_b32 s10, 0
.LBB1_22:                               ; =>This Inner Loop Header: Depth=1
	v_dual_mov_b32 v10, s8 :: v_dual_mov_b32 v11, s9
	s_sleep 1
	global_store_b64 v[14:15], v[12:13], off
	global_wb scope:SCOPE_SYS
	s_wait_storecnt 0x0
	s_wait_xcnt 0x0
	global_atomic_cmpswap_b64 v[10:11], v16, v[10:13], s[4:5] offset:32 th:TH_ATOMIC_RETURN scope:SCOPE_SYS
	s_wait_loadcnt 0x0
	v_cmp_eq_u64_e32 vcc_lo, v[10:11], v[12:13]
	v_mov_b64_e32 v[12:13], v[10:11]
	s_or_b32 s10, vcc_lo, s10
	s_delay_alu instid0(SALU_CYCLE_1)
	s_and_not1_b32 exec_lo, exec_lo, s10
	s_cbranch_execnz .LBB1_22
.LBB1_23:
	s_or_b32 exec_lo, exec_lo, s2
	v_mov_b32_e32 v13, 0
	s_mov_b32 s10, exec_lo
	s_mov_b32 s2, exec_lo
	v_mbcnt_lo_u32_b32 v12, s10, 0
	global_load_b64 v[10:11], v13, s[4:5] offset:16
	s_wait_xcnt 0x0
	v_cmpx_eq_u32_e32 0, v12
	s_cbranch_execz .LBB1_25
; %bb.24:
	s_bcnt1_i32_b32 s10, s10
	s_delay_alu instid0(SALU_CYCLE_1)
	v_mov_b32_e32 v12, s10
	global_wb scope:SCOPE_SYS
	s_wait_loadcnt 0x0
	s_wait_storecnt 0x0
	global_atomic_add_u64 v[10:11], v[12:13], off offset:8 scope:SCOPE_SYS
.LBB1_25:
	s_wait_xcnt 0x0
	s_or_b32 exec_lo, exec_lo, s2
	s_wait_loadcnt 0x0
	global_load_b64 v[12:13], v[10:11], off offset:16
	s_wait_loadcnt 0x0
	v_cmp_eq_u64_e32 vcc_lo, 0, v[12:13]
	s_cbranch_vccnz .LBB1_27
; %bb.26:
	global_load_b32 v10, v[10:11], off offset:24
	s_wait_xcnt 0x0
	v_mov_b32_e32 v11, 0
	s_wait_loadcnt 0x0
	v_readfirstlane_b32 s2, v10
	global_wb scope:SCOPE_SYS
	s_wait_storecnt 0x0
	global_store_b64 v[12:13], v[10:11], off scope:SCOPE_SYS
	s_and_b32 m0, s2, 0xffffff
	s_sendmsg sendmsg(MSG_INTERRUPT)
.LBB1_27:
	s_wait_xcnt 0x0
	s_or_b32 exec_lo, exec_lo, s1
	v_add_nc_u64_e32 v[6:7], v[6:7], v[4:5]
	s_branch .LBB1_31
.LBB1_28:                               ;   in Loop: Header=BB1_31 Depth=1
	s_wait_xcnt 0x0
	s_or_b32 exec_lo, exec_lo, s1
	s_delay_alu instid0(VALU_DEP_1)
	v_readfirstlane_b32 s1, v5
	s_cmp_eq_u32 s1, 0
	s_cbranch_scc1 .LBB1_30
; %bb.29:                               ;   in Loop: Header=BB1_31 Depth=1
	s_sleep 1
	s_cbranch_execnz .LBB1_31
	s_branch .LBB1_33
.LBB1_30:
	s_branch .LBB1_33
.LBB1_31:                               ; =>This Inner Loop Header: Depth=1
	v_mov_b32_e32 v5, 1
	s_and_saveexec_b32 s1, s0
	s_cbranch_execz .LBB1_28
; %bb.32:                               ;   in Loop: Header=BB1_31 Depth=1
	global_load_b32 v5, v[0:1], off offset:20 scope:SCOPE_SYS
	s_wait_loadcnt 0x0
	global_inv scope:SCOPE_SYS
	v_and_b32_e32 v5, 1, v5
	s_branch .LBB1_28
.LBB1_33:
	global_load_b64 v[10:11], v[6:7], off
	s_wait_xcnt 0x0
	s_and_saveexec_b32 s2, s0
	s_cbranch_execz .LBB1_37
; %bb.34:
	v_mov_b32_e32 v5, 0
	s_clause 0x2
	global_load_b64 v[0:1], v5, s[4:5] offset:40
	global_load_b64 v[16:17], v5, s[4:5] offset:24 scope:SCOPE_SYS
	global_load_b64 v[6:7], v5, s[4:5]
	s_wait_loadcnt 0x2
	v_readfirstlane_b32 s10, v0
	v_readfirstlane_b32 s11, v1
	s_add_nc_u64 s[0:1], s[10:11], 1
	s_delay_alu instid0(SALU_CYCLE_1) | instskip(NEXT) | instid1(SALU_CYCLE_1)
	s_add_nc_u64 s[8:9], s[0:1], s[8:9]
	s_cmp_eq_u64 s[8:9], 0
	s_cselect_b32 s1, s1, s9
	s_cselect_b32 s0, s0, s8
	v_mov_b32_e32 v15, s1
	s_and_b64 s[8:9], s[0:1], s[10:11]
	v_mov_b32_e32 v14, s0
	s_mul_u64 s[8:9], s[8:9], 24
	s_wait_loadcnt 0x0
	v_add_nc_u64_e32 v[0:1], s[8:9], v[6:7]
	global_store_b64 v[0:1], v[16:17], off
	global_wb scope:SCOPE_SYS
	s_wait_storecnt 0x0
	s_wait_xcnt 0x0
	global_atomic_cmpswap_b64 v[14:15], v5, v[14:17], s[4:5] offset:24 th:TH_ATOMIC_RETURN scope:SCOPE_SYS
	s_wait_loadcnt 0x0
	v_cmp_ne_u64_e32 vcc_lo, v[14:15], v[16:17]
	s_and_b32 exec_lo, exec_lo, vcc_lo
	s_cbranch_execz .LBB1_37
; %bb.35:
	s_mov_b32 s8, 0
.LBB1_36:                               ; =>This Inner Loop Header: Depth=1
	v_dual_mov_b32 v12, s0 :: v_dual_mov_b32 v13, s1
	s_sleep 1
	global_store_b64 v[0:1], v[14:15], off
	global_wb scope:SCOPE_SYS
	s_wait_storecnt 0x0
	s_wait_xcnt 0x0
	global_atomic_cmpswap_b64 v[6:7], v5, v[12:15], s[4:5] offset:24 th:TH_ATOMIC_RETURN scope:SCOPE_SYS
	s_wait_loadcnt 0x0
	v_cmp_eq_u64_e32 vcc_lo, v[6:7], v[14:15]
	v_mov_b64_e32 v[14:15], v[6:7]
	s_or_b32 s8, vcc_lo, s8
	s_delay_alu instid0(SALU_CYCLE_1)
	s_and_not1_b32 exec_lo, exec_lo, s8
	s_cbranch_execnz .LBB1_36
.LBB1_37:
	s_or_b32 exec_lo, exec_lo, s2
	s_get_pc_i64 s[8:9]
	s_add_nc_u64 s[8:9], s[8:9], .str.3@rel64+4
	s_delay_alu instid0(SALU_CYCLE_1)
	s_cmp_lg_u64 s[8:9], 0
	s_cbranch_scc0 .LBB1_116
; %bb.38:
	v_mov_b64_e32 v[18:19], 0x100000002
	s_wait_loadcnt 0x0
	v_dual_mov_b32 v17, 0 :: v_dual_bitop2_b32 v0, 2, v10 bitop3:0x40
	v_dual_mov_b32 v13, v11 :: v_dual_bitop2_b32 v12, -3, v10 bitop3:0x40
	s_mov_b64 s[10:11], 0x43
	s_branch .LBB1_40
.LBB1_39:                               ;   in Loop: Header=BB1_40 Depth=1
	s_or_b32 exec_lo, exec_lo, s2
	s_sub_nc_u64 s[10:11], s[10:11], s[12:13]
	s_add_nc_u64 s[8:9], s[8:9], s[12:13]
	s_cmp_lg_u64 s[10:11], 0
	s_cbranch_scc0 .LBB1_115
.LBB1_40:                               ; =>This Loop Header: Depth=1
                                        ;     Child Loop BB1_43 Depth 2
                                        ;     Child Loop BB1_50 Depth 2
	;; [unrolled: 1-line block ×11, first 2 shown]
	v_min_u64 v[6:7], s[10:11], 56
	v_cmp_gt_u64_e64 s0, s[10:11], 7
	s_and_b32 vcc_lo, exec_lo, s0
	v_readfirstlane_b32 s12, v6
	v_readfirstlane_b32 s13, v7
	s_cbranch_vccnz .LBB1_45
; %bb.41:                               ;   in Loop: Header=BB1_40 Depth=1
	v_mov_b64_e32 v[14:15], 0
	s_cmp_eq_u64 s[10:11], 0
	s_cbranch_scc1 .LBB1_44
; %bb.42:                               ;   in Loop: Header=BB1_40 Depth=1
	s_mov_b64 s[0:1], 0
	s_mov_b64 s[14:15], 0
.LBB1_43:                               ;   Parent Loop BB1_40 Depth=1
                                        ; =>  This Inner Loop Header: Depth=2
	s_wait_xcnt 0x0
	s_add_nc_u64 s[16:17], s[8:9], s[14:15]
	s_add_nc_u64 s[14:15], s[14:15], 1
	global_load_u8 v1, v17, s[16:17]
	s_cmp_lg_u32 s12, s14
	s_wait_loadcnt 0x0
	v_and_b32_e32 v16, 0xffff, v1
	s_delay_alu instid0(VALU_DEP_1) | instskip(SKIP_1) | instid1(VALU_DEP_1)
	v_lshlrev_b64_e32 v[6:7], s0, v[16:17]
	s_add_nc_u64 s[0:1], s[0:1], 8
	v_or_b32_e32 v14, v6, v14
	s_delay_alu instid0(VALU_DEP_2)
	v_or_b32_e32 v15, v7, v15
	s_cbranch_scc1 .LBB1_43
.LBB1_44:                               ;   in Loop: Header=BB1_40 Depth=1
	s_mov_b64 s[14:15], s[8:9]
	s_mov_b32 s2, 0
	s_cbranch_execz .LBB1_46
	s_branch .LBB1_47
.LBB1_45:                               ;   in Loop: Header=BB1_40 Depth=1
	s_add_nc_u64 s[14:15], s[8:9], 8
	s_mov_b32 s2, 0
.LBB1_46:                               ;   in Loop: Header=BB1_40 Depth=1
	global_load_b64 v[14:15], v17, s[8:9]
	s_add_co_i32 s2, s12, -8
.LBB1_47:                               ;   in Loop: Header=BB1_40 Depth=1
	s_delay_alu instid0(SALU_CYCLE_1)
	s_cmp_gt_u32 s2, 7
	s_cbranch_scc1 .LBB1_52
; %bb.48:                               ;   in Loop: Header=BB1_40 Depth=1
	v_mov_b64_e32 v[20:21], 0
	s_cmp_eq_u32 s2, 0
	s_cbranch_scc1 .LBB1_51
; %bb.49:                               ;   in Loop: Header=BB1_40 Depth=1
	s_mov_b64 s[0:1], 0
	s_wait_xcnt 0x0
	s_mov_b64 s[16:17], 0
.LBB1_50:                               ;   Parent Loop BB1_40 Depth=1
                                        ; =>  This Inner Loop Header: Depth=2
	s_wait_xcnt 0x0
	s_add_nc_u64 s[20:21], s[14:15], s[16:17]
	s_add_nc_u64 s[16:17], s[16:17], 1
	global_load_u8 v1, v17, s[20:21]
	s_cmp_lg_u32 s2, s16
	s_wait_loadcnt 0x0
	v_and_b32_e32 v16, 0xffff, v1
	s_delay_alu instid0(VALU_DEP_1) | instskip(SKIP_1) | instid1(VALU_DEP_1)
	v_lshlrev_b64_e32 v[6:7], s0, v[16:17]
	s_add_nc_u64 s[0:1], s[0:1], 8
	v_or_b32_e32 v20, v6, v20
	s_delay_alu instid0(VALU_DEP_2)
	v_or_b32_e32 v21, v7, v21
	s_cbranch_scc1 .LBB1_50
.LBB1_51:                               ;   in Loop: Header=BB1_40 Depth=1
	s_wait_xcnt 0x0
	s_mov_b64 s[0:1], s[14:15]
	s_mov_b32 s20, 0
	s_cbranch_execz .LBB1_53
	s_branch .LBB1_54
.LBB1_52:                               ;   in Loop: Header=BB1_40 Depth=1
	s_add_nc_u64 s[0:1], s[14:15], 8
	s_wait_xcnt 0x0
                                        ; implicit-def: $vgpr20_vgpr21
	s_mov_b32 s20, 0
.LBB1_53:                               ;   in Loop: Header=BB1_40 Depth=1
	global_load_b64 v[20:21], v17, s[14:15]
	s_add_co_i32 s20, s2, -8
.LBB1_54:                               ;   in Loop: Header=BB1_40 Depth=1
	s_delay_alu instid0(SALU_CYCLE_1)
	s_cmp_gt_u32 s20, 7
	s_cbranch_scc1 .LBB1_59
; %bb.55:                               ;   in Loop: Header=BB1_40 Depth=1
	v_mov_b64_e32 v[22:23], 0
	s_cmp_eq_u32 s20, 0
	s_cbranch_scc1 .LBB1_58
; %bb.56:                               ;   in Loop: Header=BB1_40 Depth=1
	s_wait_xcnt 0x0
	s_mov_b64 s[14:15], 0
	s_mov_b64 s[16:17], 0
.LBB1_57:                               ;   Parent Loop BB1_40 Depth=1
                                        ; =>  This Inner Loop Header: Depth=2
	s_wait_xcnt 0x0
	s_add_nc_u64 s[22:23], s[0:1], s[16:17]
	s_add_nc_u64 s[16:17], s[16:17], 1
	global_load_u8 v1, v17, s[22:23]
	s_cmp_lg_u32 s20, s16
	s_wait_loadcnt 0x0
	v_and_b32_e32 v16, 0xffff, v1
	s_delay_alu instid0(VALU_DEP_1) | instskip(SKIP_1) | instid1(VALU_DEP_1)
	v_lshlrev_b64_e32 v[6:7], s14, v[16:17]
	s_add_nc_u64 s[14:15], s[14:15], 8
	v_or_b32_e32 v22, v6, v22
	s_delay_alu instid0(VALU_DEP_2)
	v_or_b32_e32 v23, v7, v23
	s_cbranch_scc1 .LBB1_57
.LBB1_58:                               ;   in Loop: Header=BB1_40 Depth=1
	s_wait_xcnt 0x0
	s_mov_b64 s[14:15], s[0:1]
	s_mov_b32 s2, 0
	s_cbranch_execz .LBB1_60
	s_branch .LBB1_61
.LBB1_59:                               ;   in Loop: Header=BB1_40 Depth=1
	s_wait_xcnt 0x0
	s_add_nc_u64 s[14:15], s[0:1], 8
	s_mov_b32 s2, 0
.LBB1_60:                               ;   in Loop: Header=BB1_40 Depth=1
	global_load_b64 v[22:23], v17, s[0:1]
	s_add_co_i32 s2, s20, -8
.LBB1_61:                               ;   in Loop: Header=BB1_40 Depth=1
	s_delay_alu instid0(SALU_CYCLE_1)
	s_cmp_gt_u32 s2, 7
	s_cbranch_scc1 .LBB1_66
; %bb.62:                               ;   in Loop: Header=BB1_40 Depth=1
	v_mov_b64_e32 v[24:25], 0
	s_cmp_eq_u32 s2, 0
	s_cbranch_scc1 .LBB1_65
; %bb.63:                               ;   in Loop: Header=BB1_40 Depth=1
	s_wait_xcnt 0x0
	s_mov_b64 s[0:1], 0
	s_mov_b64 s[16:17], 0
.LBB1_64:                               ;   Parent Loop BB1_40 Depth=1
                                        ; =>  This Inner Loop Header: Depth=2
	s_wait_xcnt 0x0
	s_add_nc_u64 s[20:21], s[14:15], s[16:17]
	s_add_nc_u64 s[16:17], s[16:17], 1
	global_load_u8 v1, v17, s[20:21]
	s_cmp_lg_u32 s2, s16
	s_wait_loadcnt 0x0
	v_and_b32_e32 v16, 0xffff, v1
	s_delay_alu instid0(VALU_DEP_1) | instskip(SKIP_1) | instid1(VALU_DEP_1)
	v_lshlrev_b64_e32 v[6:7], s0, v[16:17]
	s_add_nc_u64 s[0:1], s[0:1], 8
	v_or_b32_e32 v24, v6, v24
	s_delay_alu instid0(VALU_DEP_2)
	v_or_b32_e32 v25, v7, v25
	s_cbranch_scc1 .LBB1_64
.LBB1_65:                               ;   in Loop: Header=BB1_40 Depth=1
	s_wait_xcnt 0x0
	s_mov_b64 s[0:1], s[14:15]
	s_mov_b32 s20, 0
	s_cbranch_execz .LBB1_67
	s_branch .LBB1_68
.LBB1_66:                               ;   in Loop: Header=BB1_40 Depth=1
	s_wait_xcnt 0x0
	s_add_nc_u64 s[0:1], s[14:15], 8
                                        ; implicit-def: $vgpr24_vgpr25
	s_mov_b32 s20, 0
.LBB1_67:                               ;   in Loop: Header=BB1_40 Depth=1
	global_load_b64 v[24:25], v17, s[14:15]
	s_add_co_i32 s20, s2, -8
.LBB1_68:                               ;   in Loop: Header=BB1_40 Depth=1
	s_delay_alu instid0(SALU_CYCLE_1)
	s_cmp_gt_u32 s20, 7
	s_cbranch_scc1 .LBB1_73
; %bb.69:                               ;   in Loop: Header=BB1_40 Depth=1
	v_mov_b64_e32 v[26:27], 0
	s_cmp_eq_u32 s20, 0
	s_cbranch_scc1 .LBB1_72
; %bb.70:                               ;   in Loop: Header=BB1_40 Depth=1
	s_wait_xcnt 0x0
	s_mov_b64 s[14:15], 0
	s_mov_b64 s[16:17], 0
.LBB1_71:                               ;   Parent Loop BB1_40 Depth=1
                                        ; =>  This Inner Loop Header: Depth=2
	s_wait_xcnt 0x0
	s_add_nc_u64 s[22:23], s[0:1], s[16:17]
	s_add_nc_u64 s[16:17], s[16:17], 1
	global_load_u8 v1, v17, s[22:23]
	s_cmp_lg_u32 s20, s16
	s_wait_loadcnt 0x0
	v_and_b32_e32 v16, 0xffff, v1
	s_delay_alu instid0(VALU_DEP_1) | instskip(SKIP_1) | instid1(VALU_DEP_1)
	v_lshlrev_b64_e32 v[6:7], s14, v[16:17]
	s_add_nc_u64 s[14:15], s[14:15], 8
	v_or_b32_e32 v26, v6, v26
	s_delay_alu instid0(VALU_DEP_2)
	v_or_b32_e32 v27, v7, v27
	s_cbranch_scc1 .LBB1_71
.LBB1_72:                               ;   in Loop: Header=BB1_40 Depth=1
	s_wait_xcnt 0x0
	s_mov_b64 s[14:15], s[0:1]
	s_mov_b32 s2, 0
	s_cbranch_execz .LBB1_74
	s_branch .LBB1_75
.LBB1_73:                               ;   in Loop: Header=BB1_40 Depth=1
	s_wait_xcnt 0x0
	s_add_nc_u64 s[14:15], s[0:1], 8
	s_mov_b32 s2, 0
.LBB1_74:                               ;   in Loop: Header=BB1_40 Depth=1
	global_load_b64 v[26:27], v17, s[0:1]
	s_add_co_i32 s2, s20, -8
.LBB1_75:                               ;   in Loop: Header=BB1_40 Depth=1
	s_delay_alu instid0(SALU_CYCLE_1)
	s_cmp_gt_u32 s2, 7
	s_cbranch_scc1 .LBB1_80
; %bb.76:                               ;   in Loop: Header=BB1_40 Depth=1
	v_mov_b64_e32 v[28:29], 0
	s_cmp_eq_u32 s2, 0
	s_cbranch_scc1 .LBB1_79
; %bb.77:                               ;   in Loop: Header=BB1_40 Depth=1
	s_wait_xcnt 0x0
	s_mov_b64 s[0:1], 0
	s_mov_b64 s[16:17], 0
.LBB1_78:                               ;   Parent Loop BB1_40 Depth=1
                                        ; =>  This Inner Loop Header: Depth=2
	s_wait_xcnt 0x0
	s_add_nc_u64 s[20:21], s[14:15], s[16:17]
	s_add_nc_u64 s[16:17], s[16:17], 1
	global_load_u8 v1, v17, s[20:21]
	s_cmp_lg_u32 s2, s16
	s_wait_loadcnt 0x0
	v_and_b32_e32 v16, 0xffff, v1
	s_delay_alu instid0(VALU_DEP_1) | instskip(SKIP_1) | instid1(VALU_DEP_1)
	v_lshlrev_b64_e32 v[6:7], s0, v[16:17]
	s_add_nc_u64 s[0:1], s[0:1], 8
	v_or_b32_e32 v28, v6, v28
	s_delay_alu instid0(VALU_DEP_2)
	v_or_b32_e32 v29, v7, v29
	s_cbranch_scc1 .LBB1_78
.LBB1_79:                               ;   in Loop: Header=BB1_40 Depth=1
	s_wait_xcnt 0x0
	s_mov_b64 s[0:1], s[14:15]
	s_mov_b32 s20, 0
	s_cbranch_execz .LBB1_81
	s_branch .LBB1_82
.LBB1_80:                               ;   in Loop: Header=BB1_40 Depth=1
	s_wait_xcnt 0x0
	s_add_nc_u64 s[0:1], s[14:15], 8
                                        ; implicit-def: $vgpr28_vgpr29
	s_mov_b32 s20, 0
.LBB1_81:                               ;   in Loop: Header=BB1_40 Depth=1
	global_load_b64 v[28:29], v17, s[14:15]
	s_add_co_i32 s20, s2, -8
.LBB1_82:                               ;   in Loop: Header=BB1_40 Depth=1
	s_delay_alu instid0(SALU_CYCLE_1)
	s_cmp_gt_u32 s20, 7
	s_cbranch_scc1 .LBB1_87
; %bb.83:                               ;   in Loop: Header=BB1_40 Depth=1
	v_mov_b64_e32 v[30:31], 0
	s_cmp_eq_u32 s20, 0
	s_cbranch_scc1 .LBB1_86
; %bb.84:                               ;   in Loop: Header=BB1_40 Depth=1
	s_wait_xcnt 0x0
	s_mov_b64 s[14:15], 0
	s_mov_b64 s[16:17], s[0:1]
.LBB1_85:                               ;   Parent Loop BB1_40 Depth=1
                                        ; =>  This Inner Loop Header: Depth=2
	global_load_u8 v1, v17, s[16:17]
	s_add_co_i32 s20, s20, -1
	s_wait_xcnt 0x0
	s_add_nc_u64 s[16:17], s[16:17], 1
	s_cmp_lg_u32 s20, 0
	s_wait_loadcnt 0x0
	v_and_b32_e32 v16, 0xffff, v1
	s_delay_alu instid0(VALU_DEP_1) | instskip(SKIP_1) | instid1(VALU_DEP_1)
	v_lshlrev_b64_e32 v[6:7], s14, v[16:17]
	s_add_nc_u64 s[14:15], s[14:15], 8
	v_or_b32_e32 v30, v6, v30
	s_delay_alu instid0(VALU_DEP_2)
	v_or_b32_e32 v31, v7, v31
	s_cbranch_scc1 .LBB1_85
.LBB1_86:                               ;   in Loop: Header=BB1_40 Depth=1
	s_cbranch_execz .LBB1_88
	s_branch .LBB1_89
.LBB1_87:                               ;   in Loop: Header=BB1_40 Depth=1
.LBB1_88:                               ;   in Loop: Header=BB1_40 Depth=1
	global_load_b64 v[30:31], v17, s[0:1]
.LBB1_89:                               ;   in Loop: Header=BB1_40 Depth=1
	s_wait_xcnt 0x0
	v_readfirstlane_b32 s0, v3
	v_mov_b64_e32 v[6:7], 0
	s_delay_alu instid0(VALU_DEP_2)
	v_cmp_eq_u32_e64 s0, s0, v3
	s_and_saveexec_b32 s1, s0
	s_cbranch_execz .LBB1_95
; %bb.90:                               ;   in Loop: Header=BB1_40 Depth=1
	global_load_b64 v[34:35], v17, s[4:5] offset:24 scope:SCOPE_SYS
	s_wait_loadcnt 0x0
	global_inv scope:SCOPE_SYS
	s_clause 0x1
	global_load_b64 v[6:7], v17, s[4:5] offset:40
	global_load_b64 v[32:33], v17, s[4:5]
	s_mov_b32 s2, exec_lo
	s_wait_loadcnt 0x1
	v_and_b32_e32 v6, v6, v34
	v_and_b32_e32 v7, v7, v35
	s_delay_alu instid0(VALU_DEP_1) | instskip(SKIP_1) | instid1(VALU_DEP_1)
	v_mul_u64_e32 v[6:7], 24, v[6:7]
	s_wait_loadcnt 0x0
	v_add_nc_u64_e32 v[6:7], v[32:33], v[6:7]
	global_load_b64 v[32:33], v[6:7], off scope:SCOPE_SYS
	s_wait_xcnt 0x0
	s_wait_loadcnt 0x0
	global_atomic_cmpswap_b64 v[6:7], v17, v[32:35], s[4:5] offset:24 th:TH_ATOMIC_RETURN scope:SCOPE_SYS
	s_wait_loadcnt 0x0
	global_inv scope:SCOPE_SYS
	s_wait_xcnt 0x0
	v_cmpx_ne_u64_e64 v[6:7], v[34:35]
	s_cbranch_execz .LBB1_94
; %bb.91:                               ;   in Loop: Header=BB1_40 Depth=1
	s_mov_b32 s14, 0
.LBB1_92:                               ;   Parent Loop BB1_40 Depth=1
                                        ; =>  This Inner Loop Header: Depth=2
	s_sleep 1
	s_clause 0x1
	global_load_b64 v[32:33], v17, s[4:5] offset:40
	global_load_b64 v[36:37], v17, s[4:5]
	v_mov_b64_e32 v[34:35], v[6:7]
	s_wait_loadcnt 0x1
	s_delay_alu instid0(VALU_DEP_1) | instskip(SKIP_1) | instid1(VALU_DEP_1)
	v_and_b32_e32 v1, v32, v34
	s_wait_loadcnt 0x0
	v_mad_nc_u64_u32 v[6:7], v1, 24, v[36:37]
	s_delay_alu instid0(VALU_DEP_3) | instskip(NEXT) | instid1(VALU_DEP_1)
	v_and_b32_e32 v1, v33, v35
	v_mad_u32 v7, v1, 24, v7
	global_load_b64 v[32:33], v[6:7], off scope:SCOPE_SYS
	s_wait_xcnt 0x0
	s_wait_loadcnt 0x0
	global_atomic_cmpswap_b64 v[6:7], v17, v[32:35], s[4:5] offset:24 th:TH_ATOMIC_RETURN scope:SCOPE_SYS
	s_wait_loadcnt 0x0
	global_inv scope:SCOPE_SYS
	v_cmp_eq_u64_e32 vcc_lo, v[6:7], v[34:35]
	s_or_b32 s14, vcc_lo, s14
	s_wait_xcnt 0x0
	s_and_not1_b32 exec_lo, exec_lo, s14
	s_cbranch_execnz .LBB1_92
; %bb.93:                               ;   in Loop: Header=BB1_40 Depth=1
	s_or_b32 exec_lo, exec_lo, s14
.LBB1_94:                               ;   in Loop: Header=BB1_40 Depth=1
	s_delay_alu instid0(SALU_CYCLE_1)
	s_or_b32 exec_lo, exec_lo, s2
.LBB1_95:                               ;   in Loop: Header=BB1_40 Depth=1
	s_delay_alu instid0(SALU_CYCLE_1)
	s_or_b32 exec_lo, exec_lo, s1
	s_clause 0x1
	global_load_b64 v[36:37], v17, s[4:5] offset:40
	global_load_b128 v[32:35], v17, s[4:5]
	v_readfirstlane_b32 s14, v6
	v_readfirstlane_b32 s15, v7
	s_mov_b32 s1, exec_lo
	s_wait_loadcnt 0x1
	v_and_b32_e32 v36, s14, v36
	v_and_b32_e32 v37, s15, v37
	s_delay_alu instid0(VALU_DEP_1) | instskip(SKIP_1) | instid1(VALU_DEP_1)
	v_mul_u64_e32 v[6:7], 24, v[36:37]
	s_wait_loadcnt 0x0
	v_add_nc_u64_e32 v[6:7], v[32:33], v[6:7]
	s_wait_xcnt 0x0
	s_and_saveexec_b32 s2, s0
	s_cbranch_execz .LBB1_97
; %bb.96:                               ;   in Loop: Header=BB1_40 Depth=1
	v_mov_b32_e32 v16, s1
	global_store_b128 v[6:7], v[16:19], off offset:8
.LBB1_97:                               ;   in Loop: Header=BB1_40 Depth=1
	s_wait_xcnt 0x0
	s_or_b32 exec_lo, exec_lo, s2
	v_cmp_lt_u64_e64 vcc_lo, s[10:11], 57
	v_lshlrev_b64_e32 v[36:37], 12, v[36:37]
	v_and_b32_e32 v5, 0xffffff1f, v12
	s_lshl_b32 s1, s12, 2
	s_delay_alu instid0(SALU_CYCLE_1) | instskip(SKIP_1) | instid1(VALU_DEP_3)
	s_add_co_i32 s1, s1, 28
	v_cndmask_b32_e32 v1, 0, v0, vcc_lo
	v_add_nc_u64_e32 v[34:35], v[34:35], v[36:37]
	s_delay_alu instid0(VALU_DEP_2) | instskip(NEXT) | instid1(VALU_DEP_2)
	v_or_b32_e32 v1, v5, v1
	v_readfirstlane_b32 s16, v34
	s_delay_alu instid0(VALU_DEP_3) | instskip(NEXT) | instid1(VALU_DEP_3)
	v_readfirstlane_b32 s17, v35
	v_and_or_b32 v12, 0x1e0, s1, v1
	s_clause 0x3
	global_store_b128 v4, v[12:15], s[16:17]
	global_store_b128 v4, v[20:23], s[16:17] offset:16
	global_store_b128 v4, v[24:27], s[16:17] offset:32
	;; [unrolled: 1-line block ×3, first 2 shown]
	s_wait_xcnt 0x0
	s_and_saveexec_b32 s1, s0
	s_cbranch_execz .LBB1_105
; %bb.98:                               ;   in Loop: Header=BB1_40 Depth=1
	s_clause 0x1
	global_load_b64 v[24:25], v17, s[4:5] offset:32 scope:SCOPE_SYS
	global_load_b64 v[12:13], v17, s[4:5] offset:40
	s_mov_b32 s2, exec_lo
	v_dual_mov_b32 v22, s14 :: v_dual_mov_b32 v23, s15
	s_wait_loadcnt 0x0
	v_and_b32_e32 v13, s15, v13
	v_and_b32_e32 v12, s14, v12
	s_delay_alu instid0(VALU_DEP_1) | instskip(NEXT) | instid1(VALU_DEP_1)
	v_mul_u64_e32 v[12:13], 24, v[12:13]
	v_add_nc_u64_e32 v[20:21], v[32:33], v[12:13]
	global_store_b64 v[20:21], v[24:25], off
	global_wb scope:SCOPE_SYS
	s_wait_storecnt 0x0
	s_wait_xcnt 0x0
	global_atomic_cmpswap_b64 v[14:15], v17, v[22:25], s[4:5] offset:32 th:TH_ATOMIC_RETURN scope:SCOPE_SYS
	s_wait_loadcnt 0x0
	v_cmpx_ne_u64_e64 v[14:15], v[24:25]
	s_cbranch_execz .LBB1_101
; %bb.99:                               ;   in Loop: Header=BB1_40 Depth=1
	s_mov_b32 s16, 0
.LBB1_100:                              ;   Parent Loop BB1_40 Depth=1
                                        ; =>  This Inner Loop Header: Depth=2
	v_dual_mov_b32 v12, s14 :: v_dual_mov_b32 v13, s15
	s_sleep 1
	global_store_b64 v[20:21], v[14:15], off
	global_wb scope:SCOPE_SYS
	s_wait_storecnt 0x0
	s_wait_xcnt 0x0
	global_atomic_cmpswap_b64 v[12:13], v17, v[12:15], s[4:5] offset:32 th:TH_ATOMIC_RETURN scope:SCOPE_SYS
	s_wait_loadcnt 0x0
	v_cmp_eq_u64_e32 vcc_lo, v[12:13], v[14:15]
	v_mov_b64_e32 v[14:15], v[12:13]
	s_or_b32 s16, vcc_lo, s16
	s_delay_alu instid0(SALU_CYCLE_1)
	s_and_not1_b32 exec_lo, exec_lo, s16
	s_cbranch_execnz .LBB1_100
.LBB1_101:                              ;   in Loop: Header=BB1_40 Depth=1
	s_or_b32 exec_lo, exec_lo, s2
	global_load_b64 v[12:13], v17, s[4:5] offset:16
	s_mov_b32 s16, exec_lo
	s_mov_b32 s2, exec_lo
	v_mbcnt_lo_u32_b32 v1, s16, 0
	s_wait_xcnt 0x0
	s_delay_alu instid0(VALU_DEP_1)
	v_cmpx_eq_u32_e32 0, v1
	s_cbranch_execz .LBB1_103
; %bb.102:                              ;   in Loop: Header=BB1_40 Depth=1
	s_bcnt1_i32_b32 s16, s16
	s_delay_alu instid0(SALU_CYCLE_1)
	v_mov_b32_e32 v16, s16
	global_wb scope:SCOPE_SYS
	s_wait_loadcnt 0x0
	s_wait_storecnt 0x0
	global_atomic_add_u64 v[12:13], v[16:17], off offset:8 scope:SCOPE_SYS
.LBB1_103:                              ;   in Loop: Header=BB1_40 Depth=1
	s_wait_xcnt 0x0
	s_or_b32 exec_lo, exec_lo, s2
	s_wait_loadcnt 0x0
	global_load_b64 v[14:15], v[12:13], off offset:16
	s_wait_loadcnt 0x0
	v_cmp_eq_u64_e32 vcc_lo, 0, v[14:15]
	s_cbranch_vccnz .LBB1_105
; %bb.104:                              ;   in Loop: Header=BB1_40 Depth=1
	global_load_b32 v16, v[12:13], off offset:24
	s_wait_loadcnt 0x0
	v_readfirstlane_b32 s2, v16
	global_wb scope:SCOPE_SYS
	s_wait_storecnt 0x0
	s_wait_xcnt 0x0
	global_store_b64 v[14:15], v[16:17], off scope:SCOPE_SYS
	s_and_b32 m0, s2, 0xffffff
	s_sendmsg sendmsg(MSG_INTERRUPT)
.LBB1_105:                              ;   in Loop: Header=BB1_40 Depth=1
	s_wait_xcnt 0x0
	s_or_b32 exec_lo, exec_lo, s1
	v_mov_b32_e32 v5, v17
	s_delay_alu instid0(VALU_DEP_1)
	v_add_nc_u64_e32 v[12:13], v[34:35], v[4:5]
	s_branch .LBB1_109
.LBB1_106:                              ;   in Loop: Header=BB1_109 Depth=2
	s_wait_xcnt 0x0
	s_or_b32 exec_lo, exec_lo, s1
	s_delay_alu instid0(VALU_DEP_1)
	v_readfirstlane_b32 s1, v1
	s_cmp_eq_u32 s1, 0
	s_cbranch_scc1 .LBB1_108
; %bb.107:                              ;   in Loop: Header=BB1_109 Depth=2
	s_sleep 1
	s_cbranch_execnz .LBB1_109
	s_branch .LBB1_111
.LBB1_108:                              ;   in Loop: Header=BB1_40 Depth=1
	s_branch .LBB1_111
.LBB1_109:                              ;   Parent Loop BB1_40 Depth=1
                                        ; =>  This Inner Loop Header: Depth=2
	v_mov_b32_e32 v1, 1
	s_and_saveexec_b32 s1, s0
	s_cbranch_execz .LBB1_106
; %bb.110:                              ;   in Loop: Header=BB1_109 Depth=2
	global_load_b32 v1, v[6:7], off offset:20 scope:SCOPE_SYS
	s_wait_loadcnt 0x0
	global_inv scope:SCOPE_SYS
	v_and_b32_e32 v1, 1, v1
	s_branch .LBB1_106
.LBB1_111:                              ;   in Loop: Header=BB1_40 Depth=1
	global_load_b64 v[12:13], v[12:13], off
	s_wait_xcnt 0x0
	s_and_saveexec_b32 s2, s0
	s_cbranch_execz .LBB1_39
; %bb.112:                              ;   in Loop: Header=BB1_40 Depth=1
	s_clause 0x2
	global_load_b64 v[6:7], v17, s[4:5] offset:40
	global_load_b64 v[24:25], v17, s[4:5] offset:24 scope:SCOPE_SYS
	global_load_b64 v[14:15], v17, s[4:5]
	s_wait_loadcnt 0x2
	v_readfirstlane_b32 s16, v6
	v_readfirstlane_b32 s17, v7
	s_add_nc_u64 s[0:1], s[16:17], 1
	s_delay_alu instid0(SALU_CYCLE_1) | instskip(NEXT) | instid1(SALU_CYCLE_1)
	s_add_nc_u64 s[14:15], s[0:1], s[14:15]
	s_cmp_eq_u64 s[14:15], 0
	s_cselect_b32 s1, s1, s15
	s_cselect_b32 s0, s0, s14
	s_delay_alu instid0(SALU_CYCLE_1) | instskip(SKIP_1) | instid1(SALU_CYCLE_1)
	v_dual_mov_b32 v23, s1 :: v_dual_mov_b32 v22, s0
	s_and_b64 s[14:15], s[0:1], s[16:17]
	s_mul_u64 s[14:15], s[14:15], 24
	s_wait_loadcnt 0x0
	v_add_nc_u64_e32 v[6:7], s[14:15], v[14:15]
	global_store_b64 v[6:7], v[24:25], off
	global_wb scope:SCOPE_SYS
	s_wait_storecnt 0x0
	s_wait_xcnt 0x0
	global_atomic_cmpswap_b64 v[22:23], v17, v[22:25], s[4:5] offset:24 th:TH_ATOMIC_RETURN scope:SCOPE_SYS
	s_wait_loadcnt 0x0
	v_cmp_ne_u64_e32 vcc_lo, v[22:23], v[24:25]
	s_and_b32 exec_lo, exec_lo, vcc_lo
	s_cbranch_execz .LBB1_39
; %bb.113:                              ;   in Loop: Header=BB1_40 Depth=1
	s_mov_b32 s14, 0
.LBB1_114:                              ;   Parent Loop BB1_40 Depth=1
                                        ; =>  This Inner Loop Header: Depth=2
	v_dual_mov_b32 v20, s0 :: v_dual_mov_b32 v21, s1
	s_sleep 1
	global_store_b64 v[6:7], v[22:23], off
	global_wb scope:SCOPE_SYS
	s_wait_storecnt 0x0
	s_wait_xcnt 0x0
	global_atomic_cmpswap_b64 v[14:15], v17, v[20:23], s[4:5] offset:24 th:TH_ATOMIC_RETURN scope:SCOPE_SYS
	s_wait_loadcnt 0x0
	v_cmp_eq_u64_e32 vcc_lo, v[14:15], v[22:23]
	v_mov_b64_e32 v[22:23], v[14:15]
	s_or_b32 s14, vcc_lo, s14
	s_delay_alu instid0(SALU_CYCLE_1)
	s_and_not1_b32 exec_lo, exec_lo, s14
	s_cbranch_execnz .LBB1_114
	s_branch .LBB1_39
.LBB1_115:
	s_mov_b32 s0, 0
	s_branch .LBB1_117
.LBB1_116:
	s_mov_b32 s0, -1
                                        ; implicit-def: $vgpr12_vgpr13
.LBB1_117:
	s_delay_alu instid0(SALU_CYCLE_1)
	s_and_b32 vcc_lo, exec_lo, s0
	s_cbranch_vccz .LBB1_145
; %bb.118:
	v_readfirstlane_b32 s0, v3
	v_mov_b64_e32 v[0:1], 0
	s_delay_alu instid0(VALU_DEP_2)
	v_cmp_eq_u32_e64 s0, s0, v3
	s_and_saveexec_b32 s1, s0
	s_cbranch_execz .LBB1_124
; %bb.119:
	v_mov_b32_e32 v5, 0
	s_mov_b32 s2, exec_lo
	global_load_b64 v[14:15], v5, s[4:5] offset:24 scope:SCOPE_SYS
	s_wait_loadcnt 0x0
	global_inv scope:SCOPE_SYS
	s_clause 0x1
	global_load_b64 v[0:1], v5, s[4:5] offset:40
	global_load_b64 v[6:7], v5, s[4:5]
	s_wait_loadcnt 0x1
	v_and_b32_e32 v0, v0, v14
	v_and_b32_e32 v1, v1, v15
	s_delay_alu instid0(VALU_DEP_1) | instskip(SKIP_1) | instid1(VALU_DEP_1)
	v_mul_u64_e32 v[0:1], 24, v[0:1]
	s_wait_loadcnt 0x0
	v_add_nc_u64_e32 v[0:1], v[6:7], v[0:1]
	global_load_b64 v[12:13], v[0:1], off scope:SCOPE_SYS
	s_wait_xcnt 0x0
	s_wait_loadcnt 0x0
	global_atomic_cmpswap_b64 v[0:1], v5, v[12:15], s[4:5] offset:24 th:TH_ATOMIC_RETURN scope:SCOPE_SYS
	s_wait_loadcnt 0x0
	global_inv scope:SCOPE_SYS
	s_wait_xcnt 0x0
	v_cmpx_ne_u64_e64 v[0:1], v[14:15]
	s_cbranch_execz .LBB1_123
; %bb.120:
	s_mov_b32 s8, 0
.LBB1_121:                              ; =>This Inner Loop Header: Depth=1
	s_sleep 1
	s_clause 0x1
	global_load_b64 v[6:7], v5, s[4:5] offset:40
	global_load_b64 v[12:13], v5, s[4:5]
	v_mov_b64_e32 v[14:15], v[0:1]
	s_wait_loadcnt 0x1
	s_delay_alu instid0(VALU_DEP_1) | instskip(NEXT) | instid1(VALU_DEP_2)
	v_and_b32_e32 v0, v6, v14
	v_and_b32_e32 v6, v7, v15
	s_wait_loadcnt 0x0
	s_delay_alu instid0(VALU_DEP_2) | instskip(NEXT) | instid1(VALU_DEP_1)
	v_mad_nc_u64_u32 v[0:1], v0, 24, v[12:13]
	v_mad_u32 v1, v6, 24, v1
	global_load_b64 v[12:13], v[0:1], off scope:SCOPE_SYS
	s_wait_xcnt 0x0
	s_wait_loadcnt 0x0
	global_atomic_cmpswap_b64 v[0:1], v5, v[12:15], s[4:5] offset:24 th:TH_ATOMIC_RETURN scope:SCOPE_SYS
	s_wait_loadcnt 0x0
	global_inv scope:SCOPE_SYS
	v_cmp_eq_u64_e32 vcc_lo, v[0:1], v[14:15]
	s_or_b32 s8, vcc_lo, s8
	s_wait_xcnt 0x0
	s_and_not1_b32 exec_lo, exec_lo, s8
	s_cbranch_execnz .LBB1_121
; %bb.122:
	s_or_b32 exec_lo, exec_lo, s8
.LBB1_123:
	s_delay_alu instid0(SALU_CYCLE_1)
	s_or_b32 exec_lo, exec_lo, s2
.LBB1_124:
	s_delay_alu instid0(SALU_CYCLE_1)
	s_or_b32 exec_lo, exec_lo, s1
	v_readfirstlane_b32 s8, v0
	v_mov_b32_e32 v5, 0
	v_readfirstlane_b32 s9, v1
	s_mov_b32 s1, exec_lo
	s_clause 0x1
	global_load_b64 v[6:7], v5, s[4:5] offset:40
	global_load_b128 v[14:17], v5, s[4:5]
	s_wait_loadcnt 0x1
	v_and_b32_e32 v6, s8, v6
	v_and_b32_e32 v7, s9, v7
	s_delay_alu instid0(VALU_DEP_1) | instskip(SKIP_1) | instid1(VALU_DEP_1)
	v_mul_u64_e32 v[0:1], 24, v[6:7]
	s_wait_loadcnt 0x0
	v_add_nc_u64_e32 v[0:1], v[14:15], v[0:1]
	s_wait_xcnt 0x0
	s_and_saveexec_b32 s2, s0
	s_cbranch_execz .LBB1_126
; %bb.125:
	v_mov_b64_e32 v[20:21], 0x100000002
	v_dual_mov_b32 v18, s1 :: v_dual_mov_b32 v19, v5
	global_store_b128 v[0:1], v[18:21], off offset:8
.LBB1_126:
	s_wait_xcnt 0x0
	s_or_b32 exec_lo, exec_lo, s2
	v_lshlrev_b64_e32 v[6:7], 12, v[6:7]
	s_mov_b32 s12, 0
	v_and_or_b32 v10, 0xffffff1f, v10, 32
	s_mov_b32 s14, s12
	s_mov_b32 s15, s12
	s_mov_b32 s13, s12
	v_dual_mov_b32 v12, v5 :: v_dual_mov_b32 v13, v5
	v_add_nc_u64_e32 v[6:7], v[16:17], v[6:7]
	v_mov_b64_e32 v[18:19], s[14:15]
	v_mov_b64_e32 v[16:17], s[12:13]
	s_delay_alu instid0(VALU_DEP_3) | instskip(NEXT) | instid1(VALU_DEP_4)
	v_readfirstlane_b32 s10, v6
	v_readfirstlane_b32 s11, v7
	s_clause 0x3
	global_store_b128 v4, v[10:13], s[10:11]
	global_store_b128 v4, v[16:19], s[10:11] offset:16
	global_store_b128 v4, v[16:19], s[10:11] offset:32
	;; [unrolled: 1-line block ×3, first 2 shown]
	s_wait_xcnt 0x0
	s_and_saveexec_b32 s1, s0
	s_cbranch_execz .LBB1_134
; %bb.127:
	v_dual_mov_b32 v16, 0 :: v_dual_mov_b32 v19, s9
	s_mov_b32 s2, exec_lo
	s_clause 0x1
	global_load_b64 v[20:21], v16, s[4:5] offset:32 scope:SCOPE_SYS
	global_load_b64 v[10:11], v16, s[4:5] offset:40
	s_wait_loadcnt 0x0
	v_dual_mov_b32 v18, s8 :: v_dual_bitop2_b32 v11, s9, v11 bitop3:0x40
	v_and_b32_e32 v10, s8, v10
	s_delay_alu instid0(VALU_DEP_1) | instskip(NEXT) | instid1(VALU_DEP_1)
	v_mul_u64_e32 v[10:11], 24, v[10:11]
	v_add_nc_u64_e32 v[14:15], v[14:15], v[10:11]
	global_store_b64 v[14:15], v[20:21], off
	global_wb scope:SCOPE_SYS
	s_wait_storecnt 0x0
	s_wait_xcnt 0x0
	global_atomic_cmpswap_b64 v[12:13], v16, v[18:21], s[4:5] offset:32 th:TH_ATOMIC_RETURN scope:SCOPE_SYS
	s_wait_loadcnt 0x0
	v_cmpx_ne_u64_e64 v[12:13], v[20:21]
	s_cbranch_execz .LBB1_130
; %bb.128:
	s_mov_b32 s10, 0
.LBB1_129:                              ; =>This Inner Loop Header: Depth=1
	v_dual_mov_b32 v10, s8 :: v_dual_mov_b32 v11, s9
	s_sleep 1
	global_store_b64 v[14:15], v[12:13], off
	global_wb scope:SCOPE_SYS
	s_wait_storecnt 0x0
	s_wait_xcnt 0x0
	global_atomic_cmpswap_b64 v[10:11], v16, v[10:13], s[4:5] offset:32 th:TH_ATOMIC_RETURN scope:SCOPE_SYS
	s_wait_loadcnt 0x0
	v_cmp_eq_u64_e32 vcc_lo, v[10:11], v[12:13]
	v_mov_b64_e32 v[12:13], v[10:11]
	s_or_b32 s10, vcc_lo, s10
	s_delay_alu instid0(SALU_CYCLE_1)
	s_and_not1_b32 exec_lo, exec_lo, s10
	s_cbranch_execnz .LBB1_129
.LBB1_130:
	s_or_b32 exec_lo, exec_lo, s2
	v_mov_b32_e32 v13, 0
	s_mov_b32 s10, exec_lo
	s_mov_b32 s2, exec_lo
	v_mbcnt_lo_u32_b32 v12, s10, 0
	global_load_b64 v[10:11], v13, s[4:5] offset:16
	s_wait_xcnt 0x0
	v_cmpx_eq_u32_e32 0, v12
	s_cbranch_execz .LBB1_132
; %bb.131:
	s_bcnt1_i32_b32 s10, s10
	s_delay_alu instid0(SALU_CYCLE_1)
	v_mov_b32_e32 v12, s10
	global_wb scope:SCOPE_SYS
	s_wait_loadcnt 0x0
	s_wait_storecnt 0x0
	global_atomic_add_u64 v[10:11], v[12:13], off offset:8 scope:SCOPE_SYS
.LBB1_132:
	s_wait_xcnt 0x0
	s_or_b32 exec_lo, exec_lo, s2
	s_wait_loadcnt 0x0
	global_load_b64 v[12:13], v[10:11], off offset:16
	s_wait_loadcnt 0x0
	v_cmp_eq_u64_e32 vcc_lo, 0, v[12:13]
	s_cbranch_vccnz .LBB1_134
; %bb.133:
	global_load_b32 v10, v[10:11], off offset:24
	s_wait_xcnt 0x0
	v_mov_b32_e32 v11, 0
	s_wait_loadcnt 0x0
	v_readfirstlane_b32 s2, v10
	global_wb scope:SCOPE_SYS
	s_wait_storecnt 0x0
	global_store_b64 v[12:13], v[10:11], off scope:SCOPE_SYS
	s_and_b32 m0, s2, 0xffffff
	s_sendmsg sendmsg(MSG_INTERRUPT)
.LBB1_134:
	s_wait_xcnt 0x0
	s_or_b32 exec_lo, exec_lo, s1
	v_add_nc_u64_e32 v[6:7], v[6:7], v[4:5]
	s_branch .LBB1_138
.LBB1_135:                              ;   in Loop: Header=BB1_138 Depth=1
	s_wait_xcnt 0x0
	s_or_b32 exec_lo, exec_lo, s1
	s_delay_alu instid0(VALU_DEP_1)
	v_readfirstlane_b32 s1, v5
	s_cmp_eq_u32 s1, 0
	s_cbranch_scc1 .LBB1_137
; %bb.136:                              ;   in Loop: Header=BB1_138 Depth=1
	s_sleep 1
	s_cbranch_execnz .LBB1_138
	s_branch .LBB1_140
.LBB1_137:
	s_branch .LBB1_140
.LBB1_138:                              ; =>This Inner Loop Header: Depth=1
	v_mov_b32_e32 v5, 1
	s_and_saveexec_b32 s1, s0
	s_cbranch_execz .LBB1_135
; %bb.139:                              ;   in Loop: Header=BB1_138 Depth=1
	global_load_b32 v5, v[0:1], off offset:20 scope:SCOPE_SYS
	s_wait_loadcnt 0x0
	global_inv scope:SCOPE_SYS
	v_and_b32_e32 v5, 1, v5
	s_branch .LBB1_135
.LBB1_140:
	global_load_b64 v[12:13], v[6:7], off
	s_wait_xcnt 0x0
	s_and_saveexec_b32 s2, s0
	s_cbranch_execz .LBB1_144
; %bb.141:
	v_mov_b32_e32 v5, 0
	s_clause 0x2
	global_load_b64 v[0:1], v5, s[4:5] offset:40
	global_load_b64 v[18:19], v5, s[4:5] offset:24 scope:SCOPE_SYS
	global_load_b64 v[6:7], v5, s[4:5]
	s_wait_loadcnt 0x2
	v_readfirstlane_b32 s10, v0
	v_readfirstlane_b32 s11, v1
	s_add_nc_u64 s[0:1], s[10:11], 1
	s_delay_alu instid0(SALU_CYCLE_1) | instskip(NEXT) | instid1(SALU_CYCLE_1)
	s_add_nc_u64 s[8:9], s[0:1], s[8:9]
	s_cmp_eq_u64 s[8:9], 0
	s_cselect_b32 s1, s1, s9
	s_cselect_b32 s0, s0, s8
	v_mov_b32_e32 v17, s1
	s_and_b64 s[8:9], s[0:1], s[10:11]
	v_mov_b32_e32 v16, s0
	s_mul_u64 s[8:9], s[8:9], 24
	s_wait_loadcnt 0x0
	v_add_nc_u64_e32 v[0:1], s[8:9], v[6:7]
	global_store_b64 v[0:1], v[18:19], off
	global_wb scope:SCOPE_SYS
	s_wait_storecnt 0x0
	s_wait_xcnt 0x0
	global_atomic_cmpswap_b64 v[16:17], v5, v[16:19], s[4:5] offset:24 th:TH_ATOMIC_RETURN scope:SCOPE_SYS
	s_wait_loadcnt 0x0
	v_cmp_ne_u64_e32 vcc_lo, v[16:17], v[18:19]
	s_and_b32 exec_lo, exec_lo, vcc_lo
	s_cbranch_execz .LBB1_144
; %bb.142:
	s_mov_b32 s8, 0
.LBB1_143:                              ; =>This Inner Loop Header: Depth=1
	v_dual_mov_b32 v14, s0 :: v_dual_mov_b32 v15, s1
	s_sleep 1
	global_store_b64 v[0:1], v[16:17], off
	global_wb scope:SCOPE_SYS
	s_wait_storecnt 0x0
	s_wait_xcnt 0x0
	global_atomic_cmpswap_b64 v[6:7], v5, v[14:17], s[4:5] offset:24 th:TH_ATOMIC_RETURN scope:SCOPE_SYS
	s_wait_loadcnt 0x0
	v_cmp_eq_u64_e32 vcc_lo, v[6:7], v[16:17]
	v_mov_b64_e32 v[16:17], v[6:7]
	s_or_b32 s8, vcc_lo, s8
	s_delay_alu instid0(SALU_CYCLE_1)
	s_and_not1_b32 exec_lo, exec_lo, s8
	s_cbranch_execnz .LBB1_143
.LBB1_144:
	s_or_b32 exec_lo, exec_lo, s2
.LBB1_145:
	v_readfirstlane_b32 s0, v3
	v_mov_b64_e32 v[0:1], 0
	s_delay_alu instid0(VALU_DEP_2)
	v_cmp_eq_u32_e64 s0, s0, v3
	s_and_saveexec_b32 s1, s0
	s_cbranch_execz .LBB1_151
; %bb.146:
	v_mov_b32_e32 v5, 0
	s_mov_b32 s2, exec_lo
	global_load_b64 v[16:17], v5, s[4:5] offset:24 scope:SCOPE_SYS
	s_wait_loadcnt 0x0
	global_inv scope:SCOPE_SYS
	s_clause 0x1
	global_load_b64 v[0:1], v5, s[4:5] offset:40
	global_load_b64 v[6:7], v5, s[4:5]
	s_wait_loadcnt 0x1
	v_and_b32_e32 v0, v0, v16
	v_and_b32_e32 v1, v1, v17
	s_delay_alu instid0(VALU_DEP_1) | instskip(SKIP_1) | instid1(VALU_DEP_1)
	v_mul_u64_e32 v[0:1], 24, v[0:1]
	s_wait_loadcnt 0x0
	v_add_nc_u64_e32 v[0:1], v[6:7], v[0:1]
	global_load_b64 v[14:15], v[0:1], off scope:SCOPE_SYS
	s_wait_xcnt 0x0
	s_wait_loadcnt 0x0
	global_atomic_cmpswap_b64 v[0:1], v5, v[14:17], s[4:5] offset:24 th:TH_ATOMIC_RETURN scope:SCOPE_SYS
	s_wait_loadcnt 0x0
	global_inv scope:SCOPE_SYS
	s_wait_xcnt 0x0
	v_cmpx_ne_u64_e64 v[0:1], v[16:17]
	s_cbranch_execz .LBB1_150
; %bb.147:
	s_mov_b32 s8, 0
.LBB1_148:                              ; =>This Inner Loop Header: Depth=1
	s_sleep 1
	s_clause 0x1
	global_load_b64 v[6:7], v5, s[4:5] offset:40
	global_load_b64 v[10:11], v5, s[4:5]
	v_mov_b64_e32 v[16:17], v[0:1]
	s_wait_loadcnt 0x1
	s_delay_alu instid0(VALU_DEP_1) | instskip(NEXT) | instid1(VALU_DEP_2)
	v_and_b32_e32 v0, v6, v16
	v_and_b32_e32 v6, v7, v17
	s_wait_loadcnt 0x0
	s_delay_alu instid0(VALU_DEP_2) | instskip(NEXT) | instid1(VALU_DEP_1)
	v_mad_nc_u64_u32 v[0:1], v0, 24, v[10:11]
	v_mad_u32 v1, v6, 24, v1
	global_load_b64 v[14:15], v[0:1], off scope:SCOPE_SYS
	s_wait_xcnt 0x0
	s_wait_loadcnt 0x0
	global_atomic_cmpswap_b64 v[0:1], v5, v[14:17], s[4:5] offset:24 th:TH_ATOMIC_RETURN scope:SCOPE_SYS
	s_wait_loadcnt 0x0
	global_inv scope:SCOPE_SYS
	v_cmp_eq_u64_e32 vcc_lo, v[0:1], v[16:17]
	s_or_b32 s8, vcc_lo, s8
	s_wait_xcnt 0x0
	s_and_not1_b32 exec_lo, exec_lo, s8
	s_cbranch_execnz .LBB1_148
; %bb.149:
	s_or_b32 exec_lo, exec_lo, s8
.LBB1_150:
	s_delay_alu instid0(SALU_CYCLE_1)
	s_or_b32 exec_lo, exec_lo, s2
.LBB1_151:
	s_delay_alu instid0(SALU_CYCLE_1)
	s_or_b32 exec_lo, exec_lo, s1
	v_readfirstlane_b32 s8, v0
	v_mov_b32_e32 v5, 0
	v_readfirstlane_b32 s9, v1
	s_mov_b32 s1, exec_lo
	s_clause 0x1
	global_load_b64 v[6:7], v5, s[4:5] offset:40
	global_load_b128 v[16:19], v5, s[4:5]
	s_wait_loadcnt 0x1
	v_and_b32_e32 v6, s8, v6
	v_and_b32_e32 v7, s9, v7
	s_delay_alu instid0(VALU_DEP_1) | instskip(SKIP_1) | instid1(VALU_DEP_1)
	v_mul_u64_e32 v[0:1], 24, v[6:7]
	s_wait_loadcnt 0x0
	v_add_nc_u64_e32 v[0:1], v[16:17], v[0:1]
	s_wait_xcnt 0x0
	s_and_saveexec_b32 s2, s0
	s_cbranch_execz .LBB1_153
; %bb.152:
	v_mov_b64_e32 v[22:23], 0x100000002
	v_dual_mov_b32 v20, s1 :: v_dual_mov_b32 v21, v5
	global_store_b128 v[0:1], v[20:23], off offset:8
.LBB1_153:
	s_wait_xcnt 0x0
	s_or_b32 exec_lo, exec_lo, s2
	v_lshlrev_b64_e32 v[6:7], 12, v[6:7]
	s_mov_b32 s12, 0
	v_and_or_b32 v12, 0xffffff1f, v12, 32
	s_mov_b32 s14, s12
	s_mov_b32 s15, s12
	;; [unrolled: 1-line block ×3, first 2 shown]
	v_dual_mov_b32 v14, v9 :: v_dual_mov_b32 v15, v5
	v_add_nc_u64_e32 v[6:7], v[18:19], v[6:7]
	v_mov_b64_e32 v[20:21], s[14:15]
	v_mov_b64_e32 v[18:19], s[12:13]
	s_delay_alu instid0(VALU_DEP_3) | instskip(NEXT) | instid1(VALU_DEP_4)
	v_readfirstlane_b32 s10, v6
	v_readfirstlane_b32 s11, v7
	s_clause 0x3
	global_store_b128 v4, v[12:15], s[10:11]
	global_store_b128 v4, v[18:21], s[10:11] offset:16
	global_store_b128 v4, v[18:21], s[10:11] offset:32
	;; [unrolled: 1-line block ×3, first 2 shown]
	s_wait_xcnt 0x0
	s_and_saveexec_b32 s1, s0
	s_cbranch_execz .LBB1_161
; %bb.154:
	v_mov_b32_e32 v9, 0
	s_mov_b32 s2, exec_lo
	s_clause 0x1
	global_load_b64 v[18:19], v9, s[4:5] offset:32 scope:SCOPE_SYS
	global_load_b64 v[10:11], v9, s[4:5] offset:40
	s_wait_loadcnt 0x0
	v_and_b32_e32 v10, s8, v10
	v_and_b32_e32 v11, s9, v11
	s_delay_alu instid0(VALU_DEP_1) | instskip(NEXT) | instid1(VALU_DEP_1)
	v_mul_u64_e32 v[10:11], 24, v[10:11]
	v_add_nc_u64_e32 v[14:15], v[16:17], v[10:11]
	v_dual_mov_b32 v16, s8 :: v_dual_mov_b32 v17, s9
	global_store_b64 v[14:15], v[18:19], off
	global_wb scope:SCOPE_SYS
	s_wait_storecnt 0x0
	s_wait_xcnt 0x0
	global_atomic_cmpswap_b64 v[12:13], v9, v[16:19], s[4:5] offset:32 th:TH_ATOMIC_RETURN scope:SCOPE_SYS
	s_wait_loadcnt 0x0
	v_cmpx_ne_u64_e64 v[12:13], v[18:19]
	s_cbranch_execz .LBB1_157
; %bb.155:
	s_mov_b32 s10, 0
.LBB1_156:                              ; =>This Inner Loop Header: Depth=1
	v_dual_mov_b32 v10, s8 :: v_dual_mov_b32 v11, s9
	s_sleep 1
	global_store_b64 v[14:15], v[12:13], off
	global_wb scope:SCOPE_SYS
	s_wait_storecnt 0x0
	s_wait_xcnt 0x0
	global_atomic_cmpswap_b64 v[10:11], v9, v[10:13], s[4:5] offset:32 th:TH_ATOMIC_RETURN scope:SCOPE_SYS
	s_wait_loadcnt 0x0
	v_cmp_eq_u64_e32 vcc_lo, v[10:11], v[12:13]
	v_mov_b64_e32 v[12:13], v[10:11]
	s_or_b32 s10, vcc_lo, s10
	s_delay_alu instid0(SALU_CYCLE_1)
	s_and_not1_b32 exec_lo, exec_lo, s10
	s_cbranch_execnz .LBB1_156
.LBB1_157:
	s_or_b32 exec_lo, exec_lo, s2
	v_mov_b32_e32 v13, 0
	s_mov_b32 s10, exec_lo
	s_mov_b32 s2, exec_lo
	v_mbcnt_lo_u32_b32 v9, s10, 0
	global_load_b64 v[10:11], v13, s[4:5] offset:16
	s_wait_xcnt 0x0
	v_cmpx_eq_u32_e32 0, v9
	s_cbranch_execz .LBB1_159
; %bb.158:
	s_bcnt1_i32_b32 s10, s10
	s_delay_alu instid0(SALU_CYCLE_1)
	v_mov_b32_e32 v12, s10
	global_wb scope:SCOPE_SYS
	s_wait_loadcnt 0x0
	s_wait_storecnt 0x0
	global_atomic_add_u64 v[10:11], v[12:13], off offset:8 scope:SCOPE_SYS
.LBB1_159:
	s_wait_xcnt 0x0
	s_or_b32 exec_lo, exec_lo, s2
	s_wait_loadcnt 0x0
	global_load_b64 v[12:13], v[10:11], off offset:16
	s_wait_loadcnt 0x0
	v_cmp_eq_u64_e32 vcc_lo, 0, v[12:13]
	s_cbranch_vccnz .LBB1_161
; %bb.160:
	global_load_b32 v10, v[10:11], off offset:24
	s_wait_xcnt 0x0
	v_mov_b32_e32 v11, 0
	s_wait_loadcnt 0x0
	v_readfirstlane_b32 s2, v10
	global_wb scope:SCOPE_SYS
	s_wait_storecnt 0x0
	global_store_b64 v[12:13], v[10:11], off scope:SCOPE_SYS
	s_and_b32 m0, s2, 0xffffff
	s_sendmsg sendmsg(MSG_INTERRUPT)
.LBB1_161:
	s_wait_xcnt 0x0
	s_or_b32 exec_lo, exec_lo, s1
	v_add_nc_u64_e32 v[6:7], v[6:7], v[4:5]
	s_branch .LBB1_165
.LBB1_162:                              ;   in Loop: Header=BB1_165 Depth=1
	s_wait_xcnt 0x0
	s_or_b32 exec_lo, exec_lo, s1
	s_delay_alu instid0(VALU_DEP_1)
	v_readfirstlane_b32 s1, v5
	s_cmp_eq_u32 s1, 0
	s_cbranch_scc1 .LBB1_164
; %bb.163:                              ;   in Loop: Header=BB1_165 Depth=1
	s_sleep 1
	s_cbranch_execnz .LBB1_165
	s_branch .LBB1_167
.LBB1_164:
	s_branch .LBB1_167
.LBB1_165:                              ; =>This Inner Loop Header: Depth=1
	v_mov_b32_e32 v5, 1
	s_and_saveexec_b32 s1, s0
	s_cbranch_execz .LBB1_162
; %bb.166:                              ;   in Loop: Header=BB1_165 Depth=1
	global_load_b32 v5, v[0:1], off offset:20 scope:SCOPE_SYS
	s_wait_loadcnt 0x0
	global_inv scope:SCOPE_SYS
	v_and_b32_e32 v5, 1, v5
	s_branch .LBB1_162
.LBB1_167:
	global_load_b64 v[10:11], v[6:7], off
	s_wait_xcnt 0x0
	s_and_saveexec_b32 s2, s0
	s_cbranch_execz .LBB1_171
; %bb.168:
	v_mov_b32_e32 v5, 0
	s_clause 0x2
	global_load_b64 v[0:1], v5, s[4:5] offset:40
	global_load_b64 v[16:17], v5, s[4:5] offset:24 scope:SCOPE_SYS
	global_load_b64 v[6:7], v5, s[4:5]
	s_wait_loadcnt 0x2
	v_readfirstlane_b32 s10, v0
	v_readfirstlane_b32 s11, v1
	s_add_nc_u64 s[0:1], s[10:11], 1
	s_delay_alu instid0(SALU_CYCLE_1) | instskip(NEXT) | instid1(SALU_CYCLE_1)
	s_add_nc_u64 s[8:9], s[0:1], s[8:9]
	s_cmp_eq_u64 s[8:9], 0
	s_cselect_b32 s1, s1, s9
	s_cselect_b32 s0, s0, s8
	v_mov_b32_e32 v15, s1
	s_and_b64 s[8:9], s[0:1], s[10:11]
	v_mov_b32_e32 v14, s0
	s_mul_u64 s[8:9], s[8:9], 24
	s_wait_loadcnt 0x0
	v_add_nc_u64_e32 v[0:1], s[8:9], v[6:7]
	global_store_b64 v[0:1], v[16:17], off
	global_wb scope:SCOPE_SYS
	s_wait_storecnt 0x0
	s_wait_xcnt 0x0
	global_atomic_cmpswap_b64 v[14:15], v5, v[14:17], s[4:5] offset:24 th:TH_ATOMIC_RETURN scope:SCOPE_SYS
	s_wait_loadcnt 0x0
	v_cmp_ne_u64_e32 vcc_lo, v[14:15], v[16:17]
	s_and_b32 exec_lo, exec_lo, vcc_lo
	s_cbranch_execz .LBB1_171
; %bb.169:
	s_mov_b32 s8, 0
.LBB1_170:                              ; =>This Inner Loop Header: Depth=1
	v_dual_mov_b32 v12, s0 :: v_dual_mov_b32 v13, s1
	s_sleep 1
	global_store_b64 v[0:1], v[14:15], off
	global_wb scope:SCOPE_SYS
	s_wait_storecnt 0x0
	s_wait_xcnt 0x0
	global_atomic_cmpswap_b64 v[6:7], v5, v[12:15], s[4:5] offset:24 th:TH_ATOMIC_RETURN scope:SCOPE_SYS
	s_wait_loadcnt 0x0
	v_cmp_eq_u64_e32 vcc_lo, v[6:7], v[14:15]
	v_mov_b64_e32 v[14:15], v[6:7]
	s_or_b32 s8, vcc_lo, s8
	s_delay_alu instid0(SALU_CYCLE_1)
	s_and_not1_b32 exec_lo, exec_lo, s8
	s_cbranch_execnz .LBB1_170
.LBB1_171:
	s_or_b32 exec_lo, exec_lo, s2
	v_readfirstlane_b32 s0, v3
	v_mov_b64_e32 v[0:1], 0
	s_delay_alu instid0(VALU_DEP_2)
	v_cmp_eq_u32_e64 s0, s0, v3
	s_and_saveexec_b32 s1, s0
	s_cbranch_execz .LBB1_177
; %bb.172:
	v_mov_b32_e32 v5, 0
	s_mov_b32 s2, exec_lo
	global_load_b64 v[14:15], v5, s[4:5] offset:24 scope:SCOPE_SYS
	s_wait_loadcnt 0x0
	global_inv scope:SCOPE_SYS
	s_clause 0x1
	global_load_b64 v[0:1], v5, s[4:5] offset:40
	global_load_b64 v[6:7], v5, s[4:5]
	s_wait_loadcnt 0x1
	v_and_b32_e32 v0, v0, v14
	v_and_b32_e32 v1, v1, v15
	s_delay_alu instid0(VALU_DEP_1) | instskip(SKIP_1) | instid1(VALU_DEP_1)
	v_mul_u64_e32 v[0:1], 24, v[0:1]
	s_wait_loadcnt 0x0
	v_add_nc_u64_e32 v[0:1], v[6:7], v[0:1]
	global_load_b64 v[12:13], v[0:1], off scope:SCOPE_SYS
	s_wait_xcnt 0x0
	s_wait_loadcnt 0x0
	global_atomic_cmpswap_b64 v[0:1], v5, v[12:15], s[4:5] offset:24 th:TH_ATOMIC_RETURN scope:SCOPE_SYS
	s_wait_loadcnt 0x0
	global_inv scope:SCOPE_SYS
	s_wait_xcnt 0x0
	v_cmpx_ne_u64_e64 v[0:1], v[14:15]
	s_cbranch_execz .LBB1_176
; %bb.173:
	s_mov_b32 s8, 0
.LBB1_174:                              ; =>This Inner Loop Header: Depth=1
	s_sleep 1
	s_clause 0x1
	global_load_b64 v[6:7], v5, s[4:5] offset:40
	global_load_b64 v[12:13], v5, s[4:5]
	v_mov_b64_e32 v[14:15], v[0:1]
	s_wait_loadcnt 0x1
	s_delay_alu instid0(VALU_DEP_1) | instskip(NEXT) | instid1(VALU_DEP_2)
	v_and_b32_e32 v0, v6, v14
	v_and_b32_e32 v6, v7, v15
	s_wait_loadcnt 0x0
	s_delay_alu instid0(VALU_DEP_2) | instskip(NEXT) | instid1(VALU_DEP_1)
	v_mad_nc_u64_u32 v[0:1], v0, 24, v[12:13]
	v_mad_u32 v1, v6, 24, v1
	global_load_b64 v[12:13], v[0:1], off scope:SCOPE_SYS
	s_wait_xcnt 0x0
	s_wait_loadcnt 0x0
	global_atomic_cmpswap_b64 v[0:1], v5, v[12:15], s[4:5] offset:24 th:TH_ATOMIC_RETURN scope:SCOPE_SYS
	s_wait_loadcnt 0x0
	global_inv scope:SCOPE_SYS
	v_cmp_eq_u64_e32 vcc_lo, v[0:1], v[14:15]
	s_or_b32 s8, vcc_lo, s8
	s_wait_xcnt 0x0
	s_and_not1_b32 exec_lo, exec_lo, s8
	s_cbranch_execnz .LBB1_174
; %bb.175:
	s_or_b32 exec_lo, exec_lo, s8
.LBB1_176:
	s_delay_alu instid0(SALU_CYCLE_1)
	s_or_b32 exec_lo, exec_lo, s2
.LBB1_177:
	s_delay_alu instid0(SALU_CYCLE_1)
	s_or_b32 exec_lo, exec_lo, s1
	v_readfirstlane_b32 s8, v0
	v_mov_b32_e32 v5, 0
	v_readfirstlane_b32 s9, v1
	s_mov_b32 s1, exec_lo
	s_clause 0x1
	global_load_b64 v[6:7], v5, s[4:5] offset:40
	global_load_b128 v[14:17], v5, s[4:5]
	s_wait_loadcnt 0x1
	v_and_b32_e32 v6, s8, v6
	v_and_b32_e32 v7, s9, v7
	s_delay_alu instid0(VALU_DEP_1) | instskip(SKIP_1) | instid1(VALU_DEP_1)
	v_mul_u64_e32 v[0:1], 24, v[6:7]
	s_wait_loadcnt 0x0
	v_add_nc_u64_e32 v[0:1], v[14:15], v[0:1]
	s_wait_xcnt 0x0
	s_and_saveexec_b32 s2, s0
	s_cbranch_execz .LBB1_179
; %bb.178:
	v_mov_b64_e32 v[20:21], 0x100000002
	v_dual_mov_b32 v18, s1 :: v_dual_mov_b32 v19, v5
	global_store_b128 v[0:1], v[18:21], off offset:8
.LBB1_179:
	s_wait_xcnt 0x0
	s_or_b32 exec_lo, exec_lo, s2
	v_lshlrev_b64_e32 v[6:7], 12, v[6:7]
	s_mov_b32 s12, 0
	v_and_or_b32 v10, 0xffffff1f, v10, 32
	s_mov_b32 s14, s12
	s_mov_b32 s15, s12
	;; [unrolled: 1-line block ×3, first 2 shown]
	v_dual_mov_b32 v12, s6 :: v_dual_mov_b32 v13, v5
	v_add_nc_u64_e32 v[6:7], v[16:17], v[6:7]
	v_mov_b64_e32 v[18:19], s[14:15]
	v_mov_b64_e32 v[16:17], s[12:13]
	s_delay_alu instid0(VALU_DEP_3) | instskip(NEXT) | instid1(VALU_DEP_4)
	v_readfirstlane_b32 s10, v6
	v_readfirstlane_b32 s11, v7
	s_clause 0x3
	global_store_b128 v4, v[10:13], s[10:11]
	global_store_b128 v4, v[16:19], s[10:11] offset:16
	global_store_b128 v4, v[16:19], s[10:11] offset:32
	;; [unrolled: 1-line block ×3, first 2 shown]
	s_wait_xcnt 0x0
	s_and_saveexec_b32 s1, s0
	s_cbranch_execz .LBB1_187
; %bb.180:
	v_dual_mov_b32 v9, 0 :: v_dual_mov_b32 v17, s9
	s_mov_b32 s2, exec_lo
	s_clause 0x1
	global_load_b64 v[18:19], v9, s[4:5] offset:32 scope:SCOPE_SYS
	global_load_b64 v[10:11], v9, s[4:5] offset:40
	s_wait_loadcnt 0x0
	v_dual_mov_b32 v16, s8 :: v_dual_bitop2_b32 v11, s9, v11 bitop3:0x40
	v_and_b32_e32 v10, s8, v10
	s_delay_alu instid0(VALU_DEP_1) | instskip(NEXT) | instid1(VALU_DEP_1)
	v_mul_u64_e32 v[10:11], 24, v[10:11]
	v_add_nc_u64_e32 v[14:15], v[14:15], v[10:11]
	global_store_b64 v[14:15], v[18:19], off
	global_wb scope:SCOPE_SYS
	s_wait_storecnt 0x0
	s_wait_xcnt 0x0
	global_atomic_cmpswap_b64 v[12:13], v9, v[16:19], s[4:5] offset:32 th:TH_ATOMIC_RETURN scope:SCOPE_SYS
	s_wait_loadcnt 0x0
	v_cmpx_ne_u64_e64 v[12:13], v[18:19]
	s_cbranch_execz .LBB1_183
; %bb.181:
	s_mov_b32 s6, 0
.LBB1_182:                              ; =>This Inner Loop Header: Depth=1
	v_dual_mov_b32 v10, s8 :: v_dual_mov_b32 v11, s9
	s_sleep 1
	global_store_b64 v[14:15], v[12:13], off
	global_wb scope:SCOPE_SYS
	s_wait_storecnt 0x0
	s_wait_xcnt 0x0
	global_atomic_cmpswap_b64 v[10:11], v9, v[10:13], s[4:5] offset:32 th:TH_ATOMIC_RETURN scope:SCOPE_SYS
	s_wait_loadcnt 0x0
	v_cmp_eq_u64_e32 vcc_lo, v[10:11], v[12:13]
	v_mov_b64_e32 v[12:13], v[10:11]
	s_or_b32 s6, vcc_lo, s6
	s_delay_alu instid0(SALU_CYCLE_1)
	s_and_not1_b32 exec_lo, exec_lo, s6
	s_cbranch_execnz .LBB1_182
.LBB1_183:
	s_or_b32 exec_lo, exec_lo, s2
	v_mov_b32_e32 v13, 0
	s_mov_b32 s6, exec_lo
	s_mov_b32 s2, exec_lo
	v_mbcnt_lo_u32_b32 v9, s6, 0
	global_load_b64 v[10:11], v13, s[4:5] offset:16
	s_wait_xcnt 0x0
	v_cmpx_eq_u32_e32 0, v9
	s_cbranch_execz .LBB1_185
; %bb.184:
	s_bcnt1_i32_b32 s6, s6
	s_delay_alu instid0(SALU_CYCLE_1)
	v_mov_b32_e32 v12, s6
	global_wb scope:SCOPE_SYS
	s_wait_loadcnt 0x0
	s_wait_storecnt 0x0
	global_atomic_add_u64 v[10:11], v[12:13], off offset:8 scope:SCOPE_SYS
.LBB1_185:
	s_wait_xcnt 0x0
	s_or_b32 exec_lo, exec_lo, s2
	s_wait_loadcnt 0x0
	global_load_b64 v[12:13], v[10:11], off offset:16
	s_wait_loadcnt 0x0
	v_cmp_eq_u64_e32 vcc_lo, 0, v[12:13]
	s_cbranch_vccnz .LBB1_187
; %bb.186:
	global_load_b32 v10, v[10:11], off offset:24
	s_wait_xcnt 0x0
	v_mov_b32_e32 v11, 0
	s_wait_loadcnt 0x0
	v_readfirstlane_b32 s2, v10
	global_wb scope:SCOPE_SYS
	s_wait_storecnt 0x0
	global_store_b64 v[12:13], v[10:11], off scope:SCOPE_SYS
	s_and_b32 m0, s2, 0xffffff
	s_sendmsg sendmsg(MSG_INTERRUPT)
.LBB1_187:
	s_wait_xcnt 0x0
	s_or_b32 exec_lo, exec_lo, s1
	v_add_nc_u64_e32 v[6:7], v[6:7], v[4:5]
	s_branch .LBB1_191
.LBB1_188:                              ;   in Loop: Header=BB1_191 Depth=1
	s_wait_xcnt 0x0
	s_or_b32 exec_lo, exec_lo, s1
	s_delay_alu instid0(VALU_DEP_1)
	v_readfirstlane_b32 s1, v5
	s_cmp_eq_u32 s1, 0
	s_cbranch_scc1 .LBB1_190
; %bb.189:                              ;   in Loop: Header=BB1_191 Depth=1
	s_sleep 1
	s_cbranch_execnz .LBB1_191
	s_branch .LBB1_193
.LBB1_190:
	s_branch .LBB1_193
.LBB1_191:                              ; =>This Inner Loop Header: Depth=1
	v_mov_b32_e32 v5, 1
	s_and_saveexec_b32 s1, s0
	s_cbranch_execz .LBB1_188
; %bb.192:                              ;   in Loop: Header=BB1_191 Depth=1
	global_load_b32 v5, v[0:1], off offset:20 scope:SCOPE_SYS
	s_wait_loadcnt 0x0
	global_inv scope:SCOPE_SYS
	v_and_b32_e32 v5, 1, v5
	s_branch .LBB1_188
.LBB1_193:
	global_load_b64 v[6:7], v[6:7], off
	s_wait_xcnt 0x0
	s_and_saveexec_b32 s2, s0
	s_cbranch_execz .LBB1_197
; %bb.194:
	v_mov_b32_e32 v5, 0
	s_clause 0x2
	global_load_b64 v[0:1], v5, s[4:5] offset:40
	global_load_b64 v[14:15], v5, s[4:5] offset:24 scope:SCOPE_SYS
	global_load_b64 v[10:11], v5, s[4:5]
	s_wait_loadcnt 0x2
	v_readfirstlane_b32 s10, v0
	v_readfirstlane_b32 s11, v1
	s_add_nc_u64 s[0:1], s[10:11], 1
	s_delay_alu instid0(SALU_CYCLE_1) | instskip(NEXT) | instid1(SALU_CYCLE_1)
	s_add_nc_u64 s[8:9], s[0:1], s[8:9]
	s_cmp_eq_u64 s[8:9], 0
	s_cselect_b32 s1, s1, s9
	s_cselect_b32 s0, s0, s8
	v_mov_b32_e32 v13, s1
	s_and_b64 s[8:9], s[0:1], s[10:11]
	v_mov_b32_e32 v12, s0
	s_mul_u64 s[8:9], s[8:9], 24
	s_wait_loadcnt 0x0
	v_add_nc_u64_e32 v[0:1], s[8:9], v[10:11]
	global_store_b64 v[0:1], v[14:15], off
	global_wb scope:SCOPE_SYS
	s_wait_storecnt 0x0
	s_wait_xcnt 0x0
	global_atomic_cmpswap_b64 v[12:13], v5, v[12:15], s[4:5] offset:24 th:TH_ATOMIC_RETURN scope:SCOPE_SYS
	s_wait_loadcnt 0x0
	v_cmp_ne_u64_e32 vcc_lo, v[12:13], v[14:15]
	s_and_b32 exec_lo, exec_lo, vcc_lo
	s_cbranch_execz .LBB1_197
; %bb.195:
	s_mov_b32 s6, 0
.LBB1_196:                              ; =>This Inner Loop Header: Depth=1
	v_dual_mov_b32 v10, s0 :: v_dual_mov_b32 v11, s1
	s_sleep 1
	global_store_b64 v[0:1], v[12:13], off
	global_wb scope:SCOPE_SYS
	s_wait_storecnt 0x0
	s_wait_xcnt 0x0
	global_atomic_cmpswap_b64 v[10:11], v5, v[10:13], s[4:5] offset:24 th:TH_ATOMIC_RETURN scope:SCOPE_SYS
	s_wait_loadcnt 0x0
	v_cmp_eq_u64_e32 vcc_lo, v[10:11], v[12:13]
	v_mov_b64_e32 v[12:13], v[10:11]
	s_or_b32 s6, vcc_lo, s6
	s_delay_alu instid0(SALU_CYCLE_1)
	s_and_not1_b32 exec_lo, exec_lo, s6
	s_cbranch_execnz .LBB1_196
.LBB1_197:
	s_or_b32 exec_lo, exec_lo, s2
	v_readfirstlane_b32 s0, v3
	v_mov_b64_e32 v[0:1], 0
	s_delay_alu instid0(VALU_DEP_2)
	v_cmp_eq_u32_e64 s0, s0, v3
	s_and_saveexec_b32 s1, s0
	s_cbranch_execz .LBB1_203
; %bb.198:
	v_mov_b32_e32 v5, 0
	s_mov_b32 s2, exec_lo
	global_load_b64 v[12:13], v5, s[4:5] offset:24 scope:SCOPE_SYS
	s_wait_loadcnt 0x0
	global_inv scope:SCOPE_SYS
	s_clause 0x1
	global_load_b64 v[0:1], v5, s[4:5] offset:40
	global_load_b64 v[10:11], v5, s[4:5]
	s_wait_loadcnt 0x1
	v_and_b32_e32 v0, v0, v12
	v_and_b32_e32 v1, v1, v13
	s_delay_alu instid0(VALU_DEP_1) | instskip(SKIP_1) | instid1(VALU_DEP_1)
	v_mul_u64_e32 v[0:1], 24, v[0:1]
	s_wait_loadcnt 0x0
	v_add_nc_u64_e32 v[0:1], v[10:11], v[0:1]
	global_load_b64 v[10:11], v[0:1], off scope:SCOPE_SYS
	s_wait_xcnt 0x0
	s_wait_loadcnt 0x0
	global_atomic_cmpswap_b64 v[0:1], v5, v[10:13], s[4:5] offset:24 th:TH_ATOMIC_RETURN scope:SCOPE_SYS
	s_wait_loadcnt 0x0
	global_inv scope:SCOPE_SYS
	s_wait_xcnt 0x0
	v_cmpx_ne_u64_e64 v[0:1], v[12:13]
	s_cbranch_execz .LBB1_202
; %bb.199:
	s_mov_b32 s6, 0
.LBB1_200:                              ; =>This Inner Loop Header: Depth=1
	s_sleep 1
	s_clause 0x1
	global_load_b64 v[10:11], v5, s[4:5] offset:40
	global_load_b64 v[14:15], v5, s[4:5]
	v_mov_b64_e32 v[12:13], v[0:1]
	s_wait_loadcnt 0x1
	s_delay_alu instid0(VALU_DEP_1) | instskip(NEXT) | instid1(VALU_DEP_2)
	v_and_b32_e32 v0, v10, v12
	v_and_b32_e32 v9, v11, v13
	s_wait_loadcnt 0x0
	s_delay_alu instid0(VALU_DEP_2) | instskip(NEXT) | instid1(VALU_DEP_1)
	v_mad_nc_u64_u32 v[0:1], v0, 24, v[14:15]
	v_mad_u32 v1, v9, 24, v1
	global_load_b64 v[10:11], v[0:1], off scope:SCOPE_SYS
	s_wait_xcnt 0x0
	s_wait_loadcnt 0x0
	global_atomic_cmpswap_b64 v[0:1], v5, v[10:13], s[4:5] offset:24 th:TH_ATOMIC_RETURN scope:SCOPE_SYS
	s_wait_loadcnt 0x0
	global_inv scope:SCOPE_SYS
	v_cmp_eq_u64_e32 vcc_lo, v[0:1], v[12:13]
	s_or_b32 s6, vcc_lo, s6
	s_wait_xcnt 0x0
	s_and_not1_b32 exec_lo, exec_lo, s6
	s_cbranch_execnz .LBB1_200
; %bb.201:
	s_or_b32 exec_lo, exec_lo, s6
.LBB1_202:
	s_delay_alu instid0(SALU_CYCLE_1)
	s_or_b32 exec_lo, exec_lo, s2
.LBB1_203:
	s_delay_alu instid0(SALU_CYCLE_1)
	s_or_b32 exec_lo, exec_lo, s1
	v_readfirstlane_b32 s8, v0
	v_mov_b32_e32 v5, 0
	v_readfirstlane_b32 s9, v1
	s_mov_b32 s1, exec_lo
	s_clause 0x1
	global_load_b64 v[14:15], v5, s[4:5] offset:40
	global_load_b128 v[10:13], v5, s[4:5]
	s_wait_loadcnt 0x1
	v_and_b32_e32 v14, s8, v14
	v_and_b32_e32 v15, s9, v15
	s_delay_alu instid0(VALU_DEP_1) | instskip(SKIP_1) | instid1(VALU_DEP_1)
	v_mul_u64_e32 v[0:1], 24, v[14:15]
	s_wait_loadcnt 0x0
	v_add_nc_u64_e32 v[0:1], v[10:11], v[0:1]
	s_wait_xcnt 0x0
	s_and_saveexec_b32 s2, s0
	s_cbranch_execz .LBB1_205
; %bb.204:
	v_mov_b64_e32 v[18:19], 0x100000002
	v_dual_mov_b32 v16, s1 :: v_dual_mov_b32 v17, v5
	global_store_b128 v[0:1], v[16:19], off offset:8
.LBB1_205:
	s_wait_xcnt 0x0
	s_or_b32 exec_lo, exec_lo, s2
	v_lshlrev_b64_e32 v[14:15], 12, v[14:15]
	s_mov_b32 s12, 0
	v_and_or_b32 v6, 0xffffff1f, v6, 32
	s_mov_b32 s14, s12
	s_mov_b32 s15, s12
	;; [unrolled: 1-line block ×3, first 2 shown]
	v_mov_b32_e32 v9, v5
	v_add_nc_u64_e32 v[12:13], v[12:13], v[14:15]
	v_mov_b64_e32 v[16:17], s[14:15]
	v_mov_b64_e32 v[14:15], s[12:13]
	s_delay_alu instid0(VALU_DEP_3) | instskip(NEXT) | instid1(VALU_DEP_4)
	v_readfirstlane_b32 s10, v12
	v_readfirstlane_b32 s11, v13
	s_clause 0x3
	global_store_b128 v4, v[6:9], s[10:11]
	global_store_b128 v4, v[14:17], s[10:11] offset:16
	global_store_b128 v4, v[14:17], s[10:11] offset:32
	;; [unrolled: 1-line block ×3, first 2 shown]
	s_wait_xcnt 0x0
	s_and_saveexec_b32 s1, s0
	s_cbranch_execz .LBB1_213
; %bb.206:
	v_dual_mov_b32 v14, 0 :: v_dual_mov_b32 v17, s9
	s_mov_b32 s2, exec_lo
	s_clause 0x1
	global_load_b64 v[18:19], v14, s[4:5] offset:32 scope:SCOPE_SYS
	global_load_b64 v[6:7], v14, s[4:5] offset:40
	s_wait_loadcnt 0x0
	v_dual_mov_b32 v16, s8 :: v_dual_bitop2_b32 v7, s9, v7 bitop3:0x40
	v_and_b32_e32 v6, s8, v6
	s_delay_alu instid0(VALU_DEP_1) | instskip(NEXT) | instid1(VALU_DEP_1)
	v_mul_u64_e32 v[6:7], 24, v[6:7]
	v_add_nc_u64_e32 v[10:11], v[10:11], v[6:7]
	global_store_b64 v[10:11], v[18:19], off
	global_wb scope:SCOPE_SYS
	s_wait_storecnt 0x0
	s_wait_xcnt 0x0
	global_atomic_cmpswap_b64 v[8:9], v14, v[16:19], s[4:5] offset:32 th:TH_ATOMIC_RETURN scope:SCOPE_SYS
	s_wait_loadcnt 0x0
	v_cmpx_ne_u64_e64 v[8:9], v[18:19]
	s_cbranch_execz .LBB1_209
; %bb.207:
	s_mov_b32 s6, 0
.LBB1_208:                              ; =>This Inner Loop Header: Depth=1
	v_dual_mov_b32 v6, s8 :: v_dual_mov_b32 v7, s9
	s_sleep 1
	global_store_b64 v[10:11], v[8:9], off
	global_wb scope:SCOPE_SYS
	s_wait_storecnt 0x0
	s_wait_xcnt 0x0
	global_atomic_cmpswap_b64 v[6:7], v14, v[6:9], s[4:5] offset:32 th:TH_ATOMIC_RETURN scope:SCOPE_SYS
	s_wait_loadcnt 0x0
	v_cmp_eq_u64_e32 vcc_lo, v[6:7], v[8:9]
	v_mov_b64_e32 v[8:9], v[6:7]
	s_or_b32 s6, vcc_lo, s6
	s_delay_alu instid0(SALU_CYCLE_1)
	s_and_not1_b32 exec_lo, exec_lo, s6
	s_cbranch_execnz .LBB1_208
.LBB1_209:
	s_or_b32 exec_lo, exec_lo, s2
	v_mov_b32_e32 v9, 0
	s_mov_b32 s6, exec_lo
	s_mov_b32 s2, exec_lo
	v_mbcnt_lo_u32_b32 v8, s6, 0
	global_load_b64 v[6:7], v9, s[4:5] offset:16
	s_wait_xcnt 0x0
	v_cmpx_eq_u32_e32 0, v8
	s_cbranch_execz .LBB1_211
; %bb.210:
	s_bcnt1_i32_b32 s6, s6
	s_delay_alu instid0(SALU_CYCLE_1)
	v_mov_b32_e32 v8, s6
	global_wb scope:SCOPE_SYS
	s_wait_loadcnt 0x0
	s_wait_storecnt 0x0
	global_atomic_add_u64 v[6:7], v[8:9], off offset:8 scope:SCOPE_SYS
.LBB1_211:
	s_wait_xcnt 0x0
	s_or_b32 exec_lo, exec_lo, s2
	s_wait_loadcnt 0x0
	global_load_b64 v[8:9], v[6:7], off offset:16
	s_wait_loadcnt 0x0
	v_cmp_eq_u64_e32 vcc_lo, 0, v[8:9]
	s_cbranch_vccnz .LBB1_213
; %bb.212:
	global_load_b32 v6, v[6:7], off offset:24
	s_wait_xcnt 0x0
	v_mov_b32_e32 v7, 0
	s_wait_loadcnt 0x0
	v_readfirstlane_b32 s2, v6
	global_wb scope:SCOPE_SYS
	s_wait_storecnt 0x0
	global_store_b64 v[8:9], v[6:7], off scope:SCOPE_SYS
	s_and_b32 m0, s2, 0xffffff
	s_sendmsg sendmsg(MSG_INTERRUPT)
.LBB1_213:
	s_wait_xcnt 0x0
	s_or_b32 exec_lo, exec_lo, s1
	v_add_nc_u64_e32 v[6:7], v[12:13], v[4:5]
	s_branch .LBB1_217
.LBB1_214:                              ;   in Loop: Header=BB1_217 Depth=1
	s_wait_xcnt 0x0
	s_or_b32 exec_lo, exec_lo, s1
	s_delay_alu instid0(VALU_DEP_1)
	v_readfirstlane_b32 s1, v5
	s_cmp_eq_u32 s1, 0
	s_cbranch_scc1 .LBB1_216
; %bb.215:                              ;   in Loop: Header=BB1_217 Depth=1
	s_sleep 1
	s_cbranch_execnz .LBB1_217
	s_branch .LBB1_219
.LBB1_216:
	s_branch .LBB1_219
.LBB1_217:                              ; =>This Inner Loop Header: Depth=1
	v_mov_b32_e32 v5, 1
	s_and_saveexec_b32 s1, s0
	s_cbranch_execz .LBB1_214
; %bb.218:                              ;   in Loop: Header=BB1_217 Depth=1
	global_load_b32 v5, v[0:1], off offset:20 scope:SCOPE_SYS
	s_wait_loadcnt 0x0
	global_inv scope:SCOPE_SYS
	v_and_b32_e32 v5, 1, v5
	s_branch .LBB1_214
.LBB1_219:
	global_load_b64 v[6:7], v[6:7], off
	s_wait_xcnt 0x0
	s_and_saveexec_b32 s2, s0
	s_cbranch_execz .LBB1_223
; %bb.220:
	v_mov_b32_e32 v5, 0
	s_clause 0x2
	global_load_b64 v[0:1], v5, s[4:5] offset:40
	global_load_b64 v[12:13], v5, s[4:5] offset:24 scope:SCOPE_SYS
	global_load_b64 v[8:9], v5, s[4:5]
	s_wait_loadcnt 0x2
	v_readfirstlane_b32 s10, v0
	v_readfirstlane_b32 s11, v1
	s_add_nc_u64 s[0:1], s[10:11], 1
	s_delay_alu instid0(SALU_CYCLE_1) | instskip(NEXT) | instid1(SALU_CYCLE_1)
	s_add_nc_u64 s[8:9], s[0:1], s[8:9]
	s_cmp_eq_u64 s[8:9], 0
	s_cselect_b32 s1, s1, s9
	s_cselect_b32 s0, s0, s8
	v_mov_b32_e32 v11, s1
	s_and_b64 s[8:9], s[0:1], s[10:11]
	v_mov_b32_e32 v10, s0
	s_mul_u64 s[8:9], s[8:9], 24
	s_wait_loadcnt 0x0
	v_add_nc_u64_e32 v[0:1], s[8:9], v[8:9]
	global_store_b64 v[0:1], v[12:13], off
	global_wb scope:SCOPE_SYS
	s_wait_storecnt 0x0
	s_wait_xcnt 0x0
	global_atomic_cmpswap_b64 v[10:11], v5, v[10:13], s[4:5] offset:24 th:TH_ATOMIC_RETURN scope:SCOPE_SYS
	s_wait_loadcnt 0x0
	v_cmp_ne_u64_e32 vcc_lo, v[10:11], v[12:13]
	s_and_b32 exec_lo, exec_lo, vcc_lo
	s_cbranch_execz .LBB1_223
; %bb.221:
	s_mov_b32 s6, 0
.LBB1_222:                              ; =>This Inner Loop Header: Depth=1
	v_dual_mov_b32 v8, s0 :: v_dual_mov_b32 v9, s1
	s_sleep 1
	global_store_b64 v[0:1], v[10:11], off
	global_wb scope:SCOPE_SYS
	s_wait_storecnt 0x0
	s_wait_xcnt 0x0
	global_atomic_cmpswap_b64 v[8:9], v5, v[8:11], s[4:5] offset:24 th:TH_ATOMIC_RETURN scope:SCOPE_SYS
	s_wait_loadcnt 0x0
	v_cmp_eq_u64_e32 vcc_lo, v[8:9], v[10:11]
	v_mov_b64_e32 v[10:11], v[8:9]
	s_or_b32 s6, vcc_lo, s6
	s_delay_alu instid0(SALU_CYCLE_1)
	s_and_not1_b32 exec_lo, exec_lo, s6
	s_cbranch_execnz .LBB1_222
.LBB1_223:
	s_or_b32 exec_lo, exec_lo, s2
	v_readfirstlane_b32 s0, v3
	v_mov_b64_e32 v[0:1], 0
	s_delay_alu instid0(VALU_DEP_2)
	v_cmp_eq_u32_e64 s0, s0, v3
	s_and_saveexec_b32 s1, s0
	s_cbranch_execz .LBB1_229
; %bb.224:
	v_mov_b32_e32 v5, 0
	s_mov_b32 s2, exec_lo
	global_load_b64 v[10:11], v5, s[4:5] offset:24 scope:SCOPE_SYS
	s_wait_loadcnt 0x0
	global_inv scope:SCOPE_SYS
	s_clause 0x1
	global_load_b64 v[0:1], v5, s[4:5] offset:40
	global_load_b64 v[8:9], v5, s[4:5]
	s_wait_loadcnt 0x1
	v_and_b32_e32 v0, v0, v10
	v_and_b32_e32 v1, v1, v11
	s_delay_alu instid0(VALU_DEP_1) | instskip(SKIP_1) | instid1(VALU_DEP_1)
	v_mul_u64_e32 v[0:1], 24, v[0:1]
	s_wait_loadcnt 0x0
	v_add_nc_u64_e32 v[0:1], v[8:9], v[0:1]
	global_load_b64 v[8:9], v[0:1], off scope:SCOPE_SYS
	s_wait_xcnt 0x0
	s_wait_loadcnt 0x0
	global_atomic_cmpswap_b64 v[0:1], v5, v[8:11], s[4:5] offset:24 th:TH_ATOMIC_RETURN scope:SCOPE_SYS
	s_wait_loadcnt 0x0
	global_inv scope:SCOPE_SYS
	s_wait_xcnt 0x0
	v_cmpx_ne_u64_e64 v[0:1], v[10:11]
	s_cbranch_execz .LBB1_228
; %bb.225:
	s_mov_b32 s6, 0
.LBB1_226:                              ; =>This Inner Loop Header: Depth=1
	s_sleep 1
	s_clause 0x1
	global_load_b64 v[8:9], v5, s[4:5] offset:40
	global_load_b64 v[12:13], v5, s[4:5]
	v_mov_b64_e32 v[10:11], v[0:1]
	s_wait_loadcnt 0x1
	s_delay_alu instid0(VALU_DEP_1) | instskip(NEXT) | instid1(VALU_DEP_2)
	v_and_b32_e32 v0, v8, v10
	v_and_b32_e32 v8, v9, v11
	s_wait_loadcnt 0x0
	s_delay_alu instid0(VALU_DEP_2) | instskip(NEXT) | instid1(VALU_DEP_1)
	v_mad_nc_u64_u32 v[0:1], v0, 24, v[12:13]
	v_mad_u32 v1, v8, 24, v1
	global_load_b64 v[8:9], v[0:1], off scope:SCOPE_SYS
	s_wait_xcnt 0x0
	s_wait_loadcnt 0x0
	global_atomic_cmpswap_b64 v[0:1], v5, v[8:11], s[4:5] offset:24 th:TH_ATOMIC_RETURN scope:SCOPE_SYS
	s_wait_loadcnt 0x0
	global_inv scope:SCOPE_SYS
	v_cmp_eq_u64_e32 vcc_lo, v[0:1], v[10:11]
	s_or_b32 s6, vcc_lo, s6
	s_wait_xcnt 0x0
	s_and_not1_b32 exec_lo, exec_lo, s6
	s_cbranch_execnz .LBB1_226
; %bb.227:
	s_or_b32 exec_lo, exec_lo, s6
.LBB1_228:
	s_delay_alu instid0(SALU_CYCLE_1)
	s_or_b32 exec_lo, exec_lo, s2
.LBB1_229:
	s_delay_alu instid0(SALU_CYCLE_1)
	s_or_b32 exec_lo, exec_lo, s1
	v_readfirstlane_b32 s8, v0
	v_mov_b32_e32 v5, 0
	v_readfirstlane_b32 s9, v1
	s_mov_b32 s1, exec_lo
	s_clause 0x1
	global_load_b64 v[8:9], v5, s[4:5] offset:40
	global_load_b128 v[10:13], v5, s[4:5]
	s_wait_loadcnt 0x1
	v_and_b32_e32 v8, s8, v8
	v_and_b32_e32 v9, s9, v9
	s_delay_alu instid0(VALU_DEP_1) | instskip(SKIP_1) | instid1(VALU_DEP_1)
	v_mul_u64_e32 v[0:1], 24, v[8:9]
	s_wait_loadcnt 0x0
	v_add_nc_u64_e32 v[0:1], v[10:11], v[0:1]
	s_wait_xcnt 0x0
	s_and_saveexec_b32 s2, s0
	s_cbranch_execz .LBB1_231
; %bb.230:
	v_mov_b64_e32 v[16:17], 0x100000002
	v_dual_mov_b32 v14, s1 :: v_dual_mov_b32 v15, v5
	global_store_b128 v[0:1], v[14:17], off offset:8
.LBB1_231:
	s_wait_xcnt 0x0
	s_or_b32 exec_lo, exec_lo, s2
	v_lshlrev_b64_e32 v[8:9], 12, v[8:9]
	s_mov_b32 s12, 0
	v_and_or_b32 v6, 0xffffff1f, v6, 32
	s_mov_b32 s14, s12
	s_mov_b32 s15, s12
	;; [unrolled: 1-line block ×3, first 2 shown]
	v_mov_b64_e32 v[16:17], s[14:15]
	v_add_nc_u64_e32 v[12:13], v[12:13], v[8:9]
	v_mov_b64_e32 v[14:15], s[12:13]
	v_dual_mov_b32 v8, s7 :: v_dual_mov_b32 v9, v5
	s_delay_alu instid0(VALU_DEP_3) | instskip(NEXT) | instid1(VALU_DEP_4)
	v_readfirstlane_b32 s6, v12
	v_readfirstlane_b32 s7, v13
	s_clause 0x3
	global_store_b128 v4, v[6:9], s[6:7]
	global_store_b128 v4, v[14:17], s[6:7] offset:16
	global_store_b128 v4, v[14:17], s[6:7] offset:32
	;; [unrolled: 1-line block ×3, first 2 shown]
	s_wait_xcnt 0x0
	s_and_saveexec_b32 s1, s0
	s_cbranch_execz .LBB1_239
; %bb.232:
	v_dual_mov_b32 v14, 0 :: v_dual_mov_b32 v17, s9
	s_mov_b32 s2, exec_lo
	s_clause 0x1
	global_load_b64 v[18:19], v14, s[4:5] offset:32 scope:SCOPE_SYS
	global_load_b64 v[6:7], v14, s[4:5] offset:40
	s_wait_loadcnt 0x0
	v_dual_mov_b32 v16, s8 :: v_dual_bitop2_b32 v7, s9, v7 bitop3:0x40
	v_and_b32_e32 v6, s8, v6
	s_delay_alu instid0(VALU_DEP_1) | instskip(NEXT) | instid1(VALU_DEP_1)
	v_mul_u64_e32 v[6:7], 24, v[6:7]
	v_add_nc_u64_e32 v[10:11], v[10:11], v[6:7]
	global_store_b64 v[10:11], v[18:19], off
	global_wb scope:SCOPE_SYS
	s_wait_storecnt 0x0
	s_wait_xcnt 0x0
	global_atomic_cmpswap_b64 v[8:9], v14, v[16:19], s[4:5] offset:32 th:TH_ATOMIC_RETURN scope:SCOPE_SYS
	s_wait_loadcnt 0x0
	v_cmpx_ne_u64_e64 v[8:9], v[18:19]
	s_cbranch_execz .LBB1_235
; %bb.233:
	s_mov_b32 s6, 0
.LBB1_234:                              ; =>This Inner Loop Header: Depth=1
	v_dual_mov_b32 v6, s8 :: v_dual_mov_b32 v7, s9
	s_sleep 1
	global_store_b64 v[10:11], v[8:9], off
	global_wb scope:SCOPE_SYS
	s_wait_storecnt 0x0
	s_wait_xcnt 0x0
	global_atomic_cmpswap_b64 v[6:7], v14, v[6:9], s[4:5] offset:32 th:TH_ATOMIC_RETURN scope:SCOPE_SYS
	s_wait_loadcnt 0x0
	v_cmp_eq_u64_e32 vcc_lo, v[6:7], v[8:9]
	v_mov_b64_e32 v[8:9], v[6:7]
	s_or_b32 s6, vcc_lo, s6
	s_delay_alu instid0(SALU_CYCLE_1)
	s_and_not1_b32 exec_lo, exec_lo, s6
	s_cbranch_execnz .LBB1_234
.LBB1_235:
	s_or_b32 exec_lo, exec_lo, s2
	v_mov_b32_e32 v9, 0
	s_mov_b32 s6, exec_lo
	s_mov_b32 s2, exec_lo
	v_mbcnt_lo_u32_b32 v8, s6, 0
	global_load_b64 v[6:7], v9, s[4:5] offset:16
	s_wait_xcnt 0x0
	v_cmpx_eq_u32_e32 0, v8
	s_cbranch_execz .LBB1_237
; %bb.236:
	s_bcnt1_i32_b32 s6, s6
	s_delay_alu instid0(SALU_CYCLE_1)
	v_mov_b32_e32 v8, s6
	global_wb scope:SCOPE_SYS
	s_wait_loadcnt 0x0
	s_wait_storecnt 0x0
	global_atomic_add_u64 v[6:7], v[8:9], off offset:8 scope:SCOPE_SYS
.LBB1_237:
	s_wait_xcnt 0x0
	s_or_b32 exec_lo, exec_lo, s2
	s_wait_loadcnt 0x0
	global_load_b64 v[8:9], v[6:7], off offset:16
	s_wait_loadcnt 0x0
	v_cmp_eq_u64_e32 vcc_lo, 0, v[8:9]
	s_cbranch_vccnz .LBB1_239
; %bb.238:
	global_load_b32 v6, v[6:7], off offset:24
	s_wait_xcnt 0x0
	v_mov_b32_e32 v7, 0
	s_wait_loadcnt 0x0
	v_readfirstlane_b32 s2, v6
	global_wb scope:SCOPE_SYS
	s_wait_storecnt 0x0
	global_store_b64 v[8:9], v[6:7], off scope:SCOPE_SYS
	s_and_b32 m0, s2, 0xffffff
	s_sendmsg sendmsg(MSG_INTERRUPT)
.LBB1_239:
	s_wait_xcnt 0x0
	s_or_b32 exec_lo, exec_lo, s1
	v_add_nc_u64_e32 v[6:7], v[12:13], v[4:5]
	s_branch .LBB1_243
.LBB1_240:                              ;   in Loop: Header=BB1_243 Depth=1
	s_wait_xcnt 0x0
	s_or_b32 exec_lo, exec_lo, s1
	s_delay_alu instid0(VALU_DEP_1)
	v_readfirstlane_b32 s1, v5
	s_cmp_eq_u32 s1, 0
	s_cbranch_scc1 .LBB1_242
; %bb.241:                              ;   in Loop: Header=BB1_243 Depth=1
	s_sleep 1
	s_cbranch_execnz .LBB1_243
	s_branch .LBB1_245
.LBB1_242:
	s_branch .LBB1_245
.LBB1_243:                              ; =>This Inner Loop Header: Depth=1
	v_mov_b32_e32 v5, 1
	s_and_saveexec_b32 s1, s0
	s_cbranch_execz .LBB1_240
; %bb.244:                              ;   in Loop: Header=BB1_243 Depth=1
	global_load_b32 v5, v[0:1], off offset:20 scope:SCOPE_SYS
	s_wait_loadcnt 0x0
	global_inv scope:SCOPE_SYS
	v_and_b32_e32 v5, 1, v5
	s_branch .LBB1_240
.LBB1_245:
	global_load_b64 v[0:1], v[6:7], off
	s_wait_xcnt 0x0
	s_and_saveexec_b32 s2, s0
	s_cbranch_execz .LBB1_249
; %bb.246:
	v_mov_b32_e32 v5, 0
	s_clause 0x2
	global_load_b64 v[6:7], v5, s[4:5] offset:40
	global_load_b64 v[14:15], v5, s[4:5] offset:24 scope:SCOPE_SYS
	global_load_b64 v[8:9], v5, s[4:5]
	s_wait_loadcnt 0x2
	v_readfirstlane_b32 s6, v6
	v_readfirstlane_b32 s7, v7
	s_add_nc_u64 s[0:1], s[6:7], 1
	s_delay_alu instid0(SALU_CYCLE_1) | instskip(NEXT) | instid1(SALU_CYCLE_1)
	s_add_nc_u64 s[8:9], s[0:1], s[8:9]
	s_cmp_eq_u64 s[8:9], 0
	s_cselect_b32 s1, s1, s9
	s_cselect_b32 s0, s0, s8
	v_mov_b32_e32 v13, s1
	s_and_b64 s[6:7], s[0:1], s[6:7]
	v_mov_b32_e32 v12, s0
	s_mul_u64 s[6:7], s[6:7], 24
	s_wait_loadcnt 0x0
	v_add_nc_u64_e32 v[10:11], s[6:7], v[8:9]
	global_store_b64 v[10:11], v[14:15], off
	global_wb scope:SCOPE_SYS
	s_wait_storecnt 0x0
	s_wait_xcnt 0x0
	global_atomic_cmpswap_b64 v[8:9], v5, v[12:15], s[4:5] offset:24 th:TH_ATOMIC_RETURN scope:SCOPE_SYS
	s_wait_loadcnt 0x0
	v_cmp_ne_u64_e32 vcc_lo, v[8:9], v[14:15]
	s_and_b32 exec_lo, exec_lo, vcc_lo
	s_cbranch_execz .LBB1_249
; %bb.247:
	s_mov_b32 s6, 0
.LBB1_248:                              ; =>This Inner Loop Header: Depth=1
	v_dual_mov_b32 v6, s0 :: v_dual_mov_b32 v7, s1
	s_sleep 1
	global_store_b64 v[10:11], v[8:9], off
	global_wb scope:SCOPE_SYS
	s_wait_storecnt 0x0
	s_wait_xcnt 0x0
	global_atomic_cmpswap_b64 v[6:7], v5, v[6:9], s[4:5] offset:24 th:TH_ATOMIC_RETURN scope:SCOPE_SYS
	s_wait_loadcnt 0x0
	v_cmp_eq_u64_e32 vcc_lo, v[6:7], v[8:9]
	v_mov_b64_e32 v[8:9], v[6:7]
	s_or_b32 s6, vcc_lo, s6
	s_delay_alu instid0(SALU_CYCLE_1)
	s_and_not1_b32 exec_lo, exec_lo, s6
	s_cbranch_execnz .LBB1_248
.LBB1_249:
	s_or_b32 exec_lo, exec_lo, s2
	v_readfirstlane_b32 s0, v3
	v_mov_b64_e32 v[10:11], 0
	s_delay_alu instid0(VALU_DEP_2)
	v_cmp_eq_u32_e64 s0, s0, v3
	s_and_saveexec_b32 s1, s0
	s_cbranch_execz .LBB1_255
; %bb.250:
	v_mov_b32_e32 v3, 0
	s_mov_b32 s2, exec_lo
	global_load_b64 v[8:9], v3, s[4:5] offset:24 scope:SCOPE_SYS
	s_wait_loadcnt 0x0
	global_inv scope:SCOPE_SYS
	s_clause 0x1
	global_load_b64 v[6:7], v3, s[4:5] offset:40
	global_load_b64 v[10:11], v3, s[4:5]
	s_wait_loadcnt 0x1
	v_and_b32_e32 v6, v6, v8
	v_and_b32_e32 v7, v7, v9
	s_delay_alu instid0(VALU_DEP_1) | instskip(SKIP_1) | instid1(VALU_DEP_1)
	v_mul_u64_e32 v[6:7], 24, v[6:7]
	s_wait_loadcnt 0x0
	v_add_nc_u64_e32 v[6:7], v[10:11], v[6:7]
	global_load_b64 v[6:7], v[6:7], off scope:SCOPE_SYS
	s_wait_xcnt 0x0
	s_wait_loadcnt 0x0
	global_atomic_cmpswap_b64 v[10:11], v3, v[6:9], s[4:5] offset:24 th:TH_ATOMIC_RETURN scope:SCOPE_SYS
	s_wait_loadcnt 0x0
	global_inv scope:SCOPE_SYS
	s_wait_xcnt 0x0
	v_cmpx_ne_u64_e64 v[10:11], v[8:9]
	s_cbranch_execz .LBB1_254
; %bb.251:
	s_mov_b32 s6, 0
.LBB1_252:                              ; =>This Inner Loop Header: Depth=1
	s_sleep 1
	s_clause 0x1
	global_load_b64 v[6:7], v3, s[4:5] offset:40
	global_load_b64 v[12:13], v3, s[4:5]
	v_mov_b64_e32 v[8:9], v[10:11]
	s_wait_loadcnt 0x1
	s_delay_alu instid0(VALU_DEP_1) | instskip(SKIP_1) | instid1(VALU_DEP_1)
	v_and_b32_e32 v5, v6, v8
	s_wait_loadcnt 0x0
	v_mad_nc_u64_u32 v[10:11], v5, 24, v[12:13]
	s_delay_alu instid0(VALU_DEP_3) | instskip(NEXT) | instid1(VALU_DEP_1)
	v_and_b32_e32 v5, v7, v9
	v_mad_u32 v11, v5, 24, v11
	global_load_b64 v[6:7], v[10:11], off scope:SCOPE_SYS
	s_wait_xcnt 0x0
	s_wait_loadcnt 0x0
	global_atomic_cmpswap_b64 v[10:11], v3, v[6:9], s[4:5] offset:24 th:TH_ATOMIC_RETURN scope:SCOPE_SYS
	s_wait_loadcnt 0x0
	global_inv scope:SCOPE_SYS
	v_cmp_eq_u64_e32 vcc_lo, v[10:11], v[8:9]
	s_or_b32 s6, vcc_lo, s6
	s_wait_xcnt 0x0
	s_and_not1_b32 exec_lo, exec_lo, s6
	s_cbranch_execnz .LBB1_252
; %bb.253:
	s_or_b32 exec_lo, exec_lo, s6
.LBB1_254:
	s_delay_alu instid0(SALU_CYCLE_1)
	s_or_b32 exec_lo, exec_lo, s2
.LBB1_255:
	s_delay_alu instid0(SALU_CYCLE_1)
	s_or_b32 exec_lo, exec_lo, s1
	v_readfirstlane_b32 s6, v10
	v_mov_b32_e32 v3, 0
	v_readfirstlane_b32 s7, v11
	s_mov_b32 s1, exec_lo
	s_clause 0x1
	global_load_b64 v[12:13], v3, s[4:5] offset:40
	global_load_b128 v[6:9], v3, s[4:5]
	s_wait_loadcnt 0x1
	v_and_b32_e32 v12, s6, v12
	v_and_b32_e32 v13, s7, v13
	s_delay_alu instid0(VALU_DEP_1) | instskip(SKIP_1) | instid1(VALU_DEP_1)
	v_mul_u64_e32 v[10:11], 24, v[12:13]
	s_wait_loadcnt 0x0
	v_add_nc_u64_e32 v[10:11], v[6:7], v[10:11]
	s_wait_xcnt 0x0
	s_and_saveexec_b32 s2, s0
	s_cbranch_execz .LBB1_257
; %bb.256:
	v_mov_b64_e32 v[16:17], 0x100000002
	v_dual_mov_b32 v14, s1 :: v_dual_mov_b32 v15, v3
	global_store_b128 v[10:11], v[14:17], off offset:8
.LBB1_257:
	s_wait_xcnt 0x0
	s_or_b32 exec_lo, exec_lo, s2
	v_lshlrev_b64_e32 v[12:13], 12, v[12:13]
	s_mov_b32 s8, 0
	v_and_or_b32 v0, 0xffffff1d, v0, 34
	s_mov_b32 s10, s8
	s_mov_b32 s11, s8
	;; [unrolled: 1-line block ×3, first 2 shown]
	s_delay_alu instid0(VALU_DEP_2) | instskip(SKIP_2) | instid1(VALU_DEP_3)
	v_add_nc_u64_e32 v[8:9], v[8:9], v[12:13]
	v_mov_b64_e32 v[14:15], s[10:11]
	v_mov_b64_e32 v[12:13], s[8:9]
	v_readfirstlane_b32 s12, v8
	s_delay_alu instid0(VALU_DEP_4)
	v_readfirstlane_b32 s13, v9
	s_clause 0x3
	global_store_b128 v4, v[0:3], s[12:13]
	global_store_b128 v4, v[12:15], s[12:13] offset:16
	global_store_b128 v4, v[12:15], s[12:13] offset:32
	;; [unrolled: 1-line block ×3, first 2 shown]
	s_wait_xcnt 0x0
	s_and_saveexec_b32 s1, s0
	s_cbranch_execz .LBB1_264
; %bb.258:
	v_dual_mov_b32 v8, 0 :: v_dual_mov_b32 v13, s7
	s_mov_b32 s2, exec_lo
	s_clause 0x1
	global_load_b64 v[14:15], v8, s[4:5] offset:32 scope:SCOPE_SYS
	global_load_b64 v[0:1], v8, s[4:5] offset:40
	s_wait_loadcnt 0x0
	v_dual_mov_b32 v12, s6 :: v_dual_bitop2_b32 v1, s7, v1 bitop3:0x40
	v_and_b32_e32 v0, s6, v0
	s_delay_alu instid0(VALU_DEP_1) | instskip(NEXT) | instid1(VALU_DEP_1)
	v_mul_u64_e32 v[0:1], 24, v[0:1]
	v_add_nc_u64_e32 v[4:5], v[6:7], v[0:1]
	global_store_b64 v[4:5], v[14:15], off
	global_wb scope:SCOPE_SYS
	s_wait_storecnt 0x0
	s_wait_xcnt 0x0
	global_atomic_cmpswap_b64 v[2:3], v8, v[12:15], s[4:5] offset:32 th:TH_ATOMIC_RETURN scope:SCOPE_SYS
	s_wait_loadcnt 0x0
	v_cmpx_ne_u64_e64 v[2:3], v[14:15]
	s_cbranch_execz .LBB1_260
.LBB1_259:                              ; =>This Inner Loop Header: Depth=1
	v_dual_mov_b32 v0, s6 :: v_dual_mov_b32 v1, s7
	s_sleep 1
	global_store_b64 v[4:5], v[2:3], off
	global_wb scope:SCOPE_SYS
	s_wait_storecnt 0x0
	s_wait_xcnt 0x0
	global_atomic_cmpswap_b64 v[0:1], v8, v[0:3], s[4:5] offset:32 th:TH_ATOMIC_RETURN scope:SCOPE_SYS
	s_wait_loadcnt 0x0
	v_cmp_eq_u64_e32 vcc_lo, v[0:1], v[2:3]
	v_mov_b64_e32 v[2:3], v[0:1]
	s_or_b32 s8, vcc_lo, s8
	s_delay_alu instid0(SALU_CYCLE_1)
	s_and_not1_b32 exec_lo, exec_lo, s8
	s_cbranch_execnz .LBB1_259
.LBB1_260:
	s_or_b32 exec_lo, exec_lo, s2
	v_mov_b32_e32 v3, 0
	s_mov_b32 s8, exec_lo
	s_mov_b32 s2, exec_lo
	v_mbcnt_lo_u32_b32 v2, s8, 0
	global_load_b64 v[0:1], v3, s[4:5] offset:16
	s_wait_xcnt 0x0
	v_cmpx_eq_u32_e32 0, v2
	s_cbranch_execz .LBB1_262
; %bb.261:
	s_bcnt1_i32_b32 s8, s8
	s_delay_alu instid0(SALU_CYCLE_1)
	v_mov_b32_e32 v2, s8
	global_wb scope:SCOPE_SYS
	s_wait_loadcnt 0x0
	s_wait_storecnt 0x0
	global_atomic_add_u64 v[0:1], v[2:3], off offset:8 scope:SCOPE_SYS
.LBB1_262:
	s_wait_xcnt 0x0
	s_or_b32 exec_lo, exec_lo, s2
	s_wait_loadcnt 0x0
	global_load_b64 v[2:3], v[0:1], off offset:16
	s_wait_loadcnt 0x0
	v_cmp_eq_u64_e32 vcc_lo, 0, v[2:3]
	s_cbranch_vccnz .LBB1_264
; %bb.263:
	global_load_b32 v0, v[0:1], off offset:24
	s_wait_xcnt 0x0
	v_mov_b32_e32 v1, 0
	s_wait_loadcnt 0x0
	v_readfirstlane_b32 s2, v0
	global_wb scope:SCOPE_SYS
	s_wait_storecnt 0x0
	global_store_b64 v[2:3], v[0:1], off scope:SCOPE_SYS
	s_and_b32 m0, s2, 0xffffff
	s_sendmsg sendmsg(MSG_INTERRUPT)
.LBB1_264:
	s_wait_xcnt 0x0
	s_or_b32 exec_lo, exec_lo, s1
	s_branch .LBB1_268
.LBB1_265:                              ;   in Loop: Header=BB1_268 Depth=1
	s_wait_xcnt 0x0
	s_or_b32 exec_lo, exec_lo, s1
	s_delay_alu instid0(VALU_DEP_1)
	v_readfirstlane_b32 s1, v0
	s_cmp_eq_u32 s1, 0
	s_cbranch_scc1 .LBB1_267
; %bb.266:                              ;   in Loop: Header=BB1_268 Depth=1
	s_sleep 1
	s_cbranch_execnz .LBB1_268
	s_branch .LBB1_270
.LBB1_267:
	s_branch .LBB1_270
.LBB1_268:                              ; =>This Inner Loop Header: Depth=1
	v_mov_b32_e32 v0, 1
	s_and_saveexec_b32 s1, s0
	s_cbranch_execz .LBB1_265
; %bb.269:                              ;   in Loop: Header=BB1_268 Depth=1
	global_load_b32 v0, v[10:11], off offset:20 scope:SCOPE_SYS
	s_wait_loadcnt 0x0
	global_inv scope:SCOPE_SYS
	v_and_b32_e32 v0, 1, v0
	s_branch .LBB1_265
.LBB1_270:
	s_and_b32 exec_lo, exec_lo, s0
	s_cbranch_execz .LBB1_274
; %bb.271:
	v_mov_b32_e32 v6, 0
	s_clause 0x2
	global_load_b64 v[0:1], v6, s[4:5] offset:40
	global_load_b64 v[10:11], v6, s[4:5] offset:24 scope:SCOPE_SYS
	global_load_b64 v[2:3], v6, s[4:5]
	s_wait_loadcnt 0x2
	v_readfirstlane_b32 s8, v0
	v_readfirstlane_b32 s9, v1
	s_add_nc_u64 s[0:1], s[8:9], 1
	s_delay_alu instid0(SALU_CYCLE_1) | instskip(NEXT) | instid1(SALU_CYCLE_1)
	s_add_nc_u64 s[6:7], s[0:1], s[6:7]
	s_cmp_eq_u64 s[6:7], 0
	s_cselect_b32 s1, s1, s7
	s_cselect_b32 s0, s0, s6
	v_mov_b32_e32 v9, s1
	s_and_b64 s[6:7], s[0:1], s[8:9]
	v_mov_b32_e32 v8, s0
	s_mul_u64 s[6:7], s[6:7], 24
	s_wait_loadcnt 0x0
	v_add_nc_u64_e32 v[4:5], s[6:7], v[2:3]
	global_store_b64 v[4:5], v[10:11], off
	global_wb scope:SCOPE_SYS
	s_wait_storecnt 0x0
	s_wait_xcnt 0x0
	global_atomic_cmpswap_b64 v[2:3], v6, v[8:11], s[4:5] offset:24 th:TH_ATOMIC_RETURN scope:SCOPE_SYS
	s_wait_loadcnt 0x0
	v_cmp_ne_u64_e32 vcc_lo, v[2:3], v[10:11]
	s_and_b32 exec_lo, exec_lo, vcc_lo
	s_cbranch_execz .LBB1_274
; %bb.272:
	s_mov_b32 s2, 0
.LBB1_273:                              ; =>This Inner Loop Header: Depth=1
	v_dual_mov_b32 v0, s0 :: v_dual_mov_b32 v1, s1
	s_sleep 1
	global_store_b64 v[4:5], v[2:3], off
	global_wb scope:SCOPE_SYS
	s_wait_storecnt 0x0
	s_wait_xcnt 0x0
	global_atomic_cmpswap_b64 v[0:1], v6, v[0:3], s[4:5] offset:24 th:TH_ATOMIC_RETURN scope:SCOPE_SYS
	s_wait_loadcnt 0x0
	v_cmp_eq_u64_e32 vcc_lo, v[0:1], v[2:3]
	v_mov_b64_e32 v[2:3], v[0:1]
	s_or_b32 s2, vcc_lo, s2
	s_delay_alu instid0(SALU_CYCLE_1)
	s_and_not1_b32 exec_lo, exec_lo, s2
	s_cbranch_execnz .LBB1_273
.LBB1_274:
	s_or_b32 exec_lo, exec_lo, s19
.LBB1_275:
	s_delay_alu instid0(SALU_CYCLE_1)
	s_and_b32 vcc_lo, exec_lo, s18
	s_cbranch_vccnz .LBB1_280
; %bb.276:
	s_mov_b32 s2, 0
.LBB1_277:
	s_delay_alu instid0(SALU_CYCLE_1)
	s_and_b32 vcc_lo, exec_lo, s2
	s_cbranch_vccnz .LBB1_281
.LBB1_278:
	s_and_not1_b32 vcc_lo, exec_lo, s3
	s_cbranch_vccz .LBB1_282
; %bb.279:
	s_endpgm
.LBB1_280:
	s_mov_b32 s3, -1
	s_trap 2
	s_branch .LBB1_278
.LBB1_281:
	s_trap 2
.LBB1_282:
	; divergent unreachable
	s_endpgm
	.section	.rodata,"a",@progbits
	.p2align	6, 0x0
	.amdhsa_kernel _Z32kernel_cg_group_partition_nestedjjPibS_
		.amdhsa_group_segment_fixed_size 0
		.amdhsa_private_segment_fixed_size 0
		.amdhsa_kernarg_size 288
		.amdhsa_user_sgpr_count 2
		.amdhsa_user_sgpr_dispatch_ptr 0
		.amdhsa_user_sgpr_queue_ptr 0
		.amdhsa_user_sgpr_kernarg_segment_ptr 1
		.amdhsa_user_sgpr_dispatch_id 0
		.amdhsa_user_sgpr_kernarg_preload_length 0
		.amdhsa_user_sgpr_kernarg_preload_offset 0
		.amdhsa_user_sgpr_private_segment_size 0
		.amdhsa_wavefront_size32 1
		.amdhsa_uses_dynamic_stack 0
		.amdhsa_enable_private_segment 0
		.amdhsa_system_sgpr_workgroup_id_x 1
		.amdhsa_system_sgpr_workgroup_id_y 0
		.amdhsa_system_sgpr_workgroup_id_z 0
		.amdhsa_system_sgpr_workgroup_info 0
		.amdhsa_system_vgpr_workitem_id 2
		.amdhsa_next_free_vgpr 38
		.amdhsa_next_free_sgpr 24
		.amdhsa_named_barrier_count 0
		.amdhsa_reserve_vcc 1
		.amdhsa_float_round_mode_32 0
		.amdhsa_float_round_mode_16_64 0
		.amdhsa_float_denorm_mode_32 3
		.amdhsa_float_denorm_mode_16_64 3
		.amdhsa_fp16_overflow 0
		.amdhsa_memory_ordered 1
		.amdhsa_forward_progress 1
		.amdhsa_inst_pref_size 106
		.amdhsa_round_robin_scheduling 0
		.amdhsa_exception_fp_ieee_invalid_op 0
		.amdhsa_exception_fp_denorm_src 0
		.amdhsa_exception_fp_ieee_div_zero 0
		.amdhsa_exception_fp_ieee_overflow 0
		.amdhsa_exception_fp_ieee_underflow 0
		.amdhsa_exception_fp_ieee_inexact 0
		.amdhsa_exception_int_div_zero 0
	.end_amdhsa_kernel
	.text
.Lfunc_end1:
	.size	_Z32kernel_cg_group_partition_nestedjjPibS_, .Lfunc_end1-_Z32kernel_cg_group_partition_nestedjjPibS_
                                        ; -- End function
	.set _Z32kernel_cg_group_partition_nestedjjPibS_.num_vgpr, 38
	.set _Z32kernel_cg_group_partition_nestedjjPibS_.num_agpr, 0
	.set _Z32kernel_cg_group_partition_nestedjjPibS_.numbered_sgpr, 24
	.set _Z32kernel_cg_group_partition_nestedjjPibS_.num_named_barrier, 0
	.set _Z32kernel_cg_group_partition_nestedjjPibS_.private_seg_size, 0
	.set _Z32kernel_cg_group_partition_nestedjjPibS_.uses_vcc, 1
	.set _Z32kernel_cg_group_partition_nestedjjPibS_.uses_flat_scratch, 0
	.set _Z32kernel_cg_group_partition_nestedjjPibS_.has_dyn_sized_stack, 0
	.set _Z32kernel_cg_group_partition_nestedjjPibS_.has_recursion, 0
	.set _Z32kernel_cg_group_partition_nestedjjPibS_.has_indirect_call, 0
	.section	.AMDGPU.csdata,"",@progbits
; Kernel info:
; codeLenInByte = 13504
; TotalNumSgprs: 26
; NumVgprs: 38
; ScratchSize: 0
; MemoryBound: 0
; FloatMode: 240
; IeeeMode: 1
; LDSByteSize: 0 bytes/workgroup (compile time only)
; SGPRBlocks: 0
; VGPRBlocks: 2
; NumSGPRsForWavesPerEU: 26
; NumVGPRsForWavesPerEU: 38
; NamedBarCnt: 0
; Occupancy: 16
; WaveLimiterHint : 1
; COMPUTE_PGM_RSRC2:SCRATCH_EN: 0
; COMPUTE_PGM_RSRC2:USER_SGPR: 2
; COMPUTE_PGM_RSRC2:TRAP_HANDLER: 0
; COMPUTE_PGM_RSRC2:TGID_X_EN: 1
; COMPUTE_PGM_RSRC2:TGID_Y_EN: 0
; COMPUTE_PGM_RSRC2:TGID_Z_EN: 0
; COMPUTE_PGM_RSRC2:TIDIG_COMP_CNT: 2
	.section	.text._Z32kernel_cg_group_partition_staticILj2EEvPibS0_,"axG",@progbits,_Z32kernel_cg_group_partition_staticILj2EEvPibS0_,comdat
	.protected	_Z32kernel_cg_group_partition_staticILj2EEvPibS0_ ; -- Begin function _Z32kernel_cg_group_partition_staticILj2EEvPibS0_
	.globl	_Z32kernel_cg_group_partition_staticILj2EEvPibS0_
	.p2align	8
	.type	_Z32kernel_cg_group_partition_staticILj2EEvPibS0_,@function
_Z32kernel_cg_group_partition_staticILj2EEvPibS0_: ; @_Z32kernel_cg_group_partition_staticILj2EEvPibS0_
; %bb.0:
	s_mov_b64 s[2:3], src_shared_base
	s_clause 0x1
	s_load_b64 s[4:5], s[0:1], 0x24
	s_load_b32 s2, s[0:1], 0x8
	v_bfe_u32 v1, v0, 10, 10
	v_bfe_u32 v2, v0, 20, 10
	s_load_b64 s[6:7], s[0:1], 0x10
	v_and_b32_e32 v0, 0x3ff, v0
	s_wait_kmcnt 0x0
	s_lshr_b32 s8, s4, 16
	s_and_b32 s4, s4, 0xffff
	v_mad_u32_u24 v1, v2, s8, v1
	s_and_b32 s2, 1, s2
	s_and_b32 s5, s5, 0xffff
	s_cmp_lg_u32 0, -1
	s_mul_i32 s22, s8, s4
	v_mad_u32 v32, v1, s4, v0
	s_cselect_b32 s9, 0, 0
	s_cselect_b32 s3, s3, 0
	s_cmp_eq_u32 s2, 1
	s_mul_i32 s22, s22, s5
	s_cselect_b32 s5, s7, s3
	s_cselect_b32 s4, s6, s9
	s_cmp_lt_u32 s22, 2
	s_mov_b32 s3, 0
	s_delay_alu instid0(VALU_DEP_1)
	v_mov_b32_e32 v33, v32
	s_cbranch_scc1 .LBB2_6
; %bb.1:
	v_ashrrev_i32_e32 v33, 31, v32
	s_mov_b32 s6, s22
	s_delay_alu instid0(VALU_DEP_1)
	v_lshl_add_u64 v[0:1], v[32:33], 2, s[4:5]
	v_mov_b32_e32 v33, v32
.LBB2_2:                                ; =>This Inner Loop Header: Depth=1
	s_lshr_b32 s2, s6, 1
	s_mov_b32 s7, exec_lo
	flat_store_b32 v[0:1], v33
	s_wait_storecnt_dscnt 0x0
	s_barrier_signal -1
	s_barrier_wait -1
	s_wait_xcnt 0x0
	v_cmpx_gt_i32_e64 s2, v32
	s_cbranch_execz .LBB2_4
; %bb.3:                                ;   in Loop: Header=BB2_2 Depth=1
	v_lshl_add_u64 v[2:3], s[2:3], 2, v[0:1]
	flat_load_b32 v2, v[2:3]
	s_wait_loadcnt_dscnt 0x0
	v_add_nc_u32_e32 v33, v2, v33
.LBB2_4:                                ;   in Loop: Header=BB2_2 Depth=1
	s_or_b32 exec_lo, exec_lo, s7
	s_cmp_gt_u32 s6, 3
	s_barrier_signal -1
	s_barrier_wait -1
	s_cbranch_scc0 .LBB2_6
; %bb.5:                                ;   in Loop: Header=BB2_2 Depth=1
	s_mov_b32 s6, s2
	s_branch .LBB2_2
.LBB2_6:
	v_cmp_eq_u32_e64 s2, 0, v32
	s_add_nc_u64 s[6:7], s[0:1], 24
	s_and_saveexec_b32 s23, s2
	s_cbranch_execz .LBB2_403
; %bb.7:
	s_load_b64 s[8:9], s[6:7], 0x50
	v_mbcnt_lo_u32_b32 v29, -1, 0
	v_mov_b64_e32 v[2:3], 0
	s_delay_alu instid0(VALU_DEP_2) | instskip(NEXT) | instid1(VALU_DEP_1)
	v_readfirstlane_b32 s3, v29
	v_cmp_eq_u32_e64 s3, s3, v29
	s_and_saveexec_b32 s10, s3
	s_cbranch_execz .LBB2_13
; %bb.8:
	v_mov_b32_e32 v0, 0
	s_mov_b32 s11, exec_lo
	s_wait_kmcnt 0x0
	global_load_b64 v[4:5], v0, s[8:9] offset:24 scope:SCOPE_SYS
	s_wait_loadcnt 0x0
	global_inv scope:SCOPE_SYS
	s_clause 0x1
	global_load_b64 v[2:3], v0, s[8:9] offset:40
	global_load_b64 v[6:7], v0, s[8:9]
	s_wait_loadcnt 0x1
	v_and_b32_e32 v2, v2, v4
	v_and_b32_e32 v3, v3, v5
	s_delay_alu instid0(VALU_DEP_1) | instskip(SKIP_1) | instid1(VALU_DEP_1)
	v_mul_u64_e32 v[2:3], 24, v[2:3]
	s_wait_loadcnt 0x0
	v_add_nc_u64_e32 v[2:3], v[6:7], v[2:3]
	global_load_b64 v[2:3], v[2:3], off scope:SCOPE_SYS
	s_wait_xcnt 0x0
	s_wait_loadcnt 0x0
	global_atomic_cmpswap_b64 v[2:3], v0, v[2:5], s[8:9] offset:24 th:TH_ATOMIC_RETURN scope:SCOPE_SYS
	s_wait_loadcnt 0x0
	global_inv scope:SCOPE_SYS
	s_wait_xcnt 0x0
	v_cmpx_ne_u64_e64 v[2:3], v[4:5]
	s_cbranch_execz .LBB2_12
; %bb.9:
	s_mov_b32 s12, 0
.LBB2_10:                               ; =>This Inner Loop Header: Depth=1
	s_sleep 1
	s_clause 0x1
	global_load_b64 v[6:7], v0, s[8:9] offset:40
	global_load_b64 v[8:9], v0, s[8:9]
	v_mov_b64_e32 v[4:5], v[2:3]
	s_wait_loadcnt 0x1
	s_delay_alu instid0(VALU_DEP_1) | instskip(SKIP_1) | instid1(VALU_DEP_1)
	v_and_b32_e32 v1, v6, v4
	s_wait_loadcnt 0x0
	v_mad_nc_u64_u32 v[2:3], v1, 24, v[8:9]
	s_delay_alu instid0(VALU_DEP_3) | instskip(NEXT) | instid1(VALU_DEP_1)
	v_and_b32_e32 v1, v7, v5
	v_mad_u32 v3, v1, 24, v3
	global_load_b64 v[2:3], v[2:3], off scope:SCOPE_SYS
	s_wait_xcnt 0x0
	s_wait_loadcnt 0x0
	global_atomic_cmpswap_b64 v[2:3], v0, v[2:5], s[8:9] offset:24 th:TH_ATOMIC_RETURN scope:SCOPE_SYS
	s_wait_loadcnt 0x0
	global_inv scope:SCOPE_SYS
	v_cmp_eq_u64_e32 vcc_lo, v[2:3], v[4:5]
	s_or_b32 s12, vcc_lo, s12
	s_wait_xcnt 0x0
	s_and_not1_b32 exec_lo, exec_lo, s12
	s_cbranch_execnz .LBB2_10
; %bb.11:
	s_or_b32 exec_lo, exec_lo, s12
.LBB2_12:
	s_delay_alu instid0(SALU_CYCLE_1)
	s_or_b32 exec_lo, exec_lo, s11
.LBB2_13:
	s_delay_alu instid0(SALU_CYCLE_1)
	s_or_b32 exec_lo, exec_lo, s10
	v_readfirstlane_b32 s10, v2
	v_mov_b32_e32 v1, 0
	v_readfirstlane_b32 s11, v3
	s_mov_b32 s12, exec_lo
	s_wait_kmcnt 0x0
	s_clause 0x1
	global_load_b64 v[8:9], v1, s[8:9] offset:40
	global_load_b128 v[4:7], v1, s[8:9]
	s_wait_loadcnt 0x1
	v_and_b32_e32 v10, s10, v8
	v_and_b32_e32 v11, s11, v9
	s_delay_alu instid0(VALU_DEP_1) | instskip(SKIP_1) | instid1(VALU_DEP_1)
	v_mul_u64_e32 v[2:3], 24, v[10:11]
	s_wait_loadcnt 0x0
	v_add_nc_u64_e32 v[8:9], v[4:5], v[2:3]
	s_and_saveexec_b32 s13, s3
	s_cbranch_execz .LBB2_15
; %bb.14:
	v_mov_b64_e32 v[2:3], 0x100000002
	v_mov_b32_e32 v0, s12
	global_store_b128 v[8:9], v[0:3], off offset:8
.LBB2_15:
	s_wait_xcnt 0x0
	s_or_b32 exec_lo, exec_lo, s13
	v_lshlrev_b64_e32 v[2:3], 12, v[10:11]
	s_mov_b32 s12, 0
	v_dual_lshlrev_b32 v0, 6, v29 :: v_dual_mov_b32 v10, 33
	s_mov_b32 s14, s12
	s_mov_b32 s15, s12
	s_mov_b32 s13, s12
	s_delay_alu instid0(VALU_DEP_2)
	v_add_nc_u64_e32 v[6:7], v[6:7], v[2:3]
	v_mov_b64_e32 v[16:17], s[14:15]
	v_mov_b64_e32 v[14:15], s[12:13]
	v_dual_mov_b32 v11, v1 :: v_dual_mov_b32 v12, v1
	v_mov_b32_e32 v13, v1
	v_readfirstlane_b32 s16, v6
	v_readfirstlane_b32 s17, v7
	s_clause 0x3
	global_store_b128 v0, v[10:13], s[16:17]
	global_store_b128 v0, v[14:17], s[16:17] offset:16
	global_store_b128 v0, v[14:17], s[16:17] offset:32
	;; [unrolled: 1-line block ×3, first 2 shown]
	s_wait_xcnt 0x0
	s_and_saveexec_b32 s12, s3
	s_cbranch_execz .LBB2_23
; %bb.16:
	v_dual_mov_b32 v12, 0 :: v_dual_mov_b32 v15, s11
	s_mov_b32 s13, exec_lo
	s_clause 0x1
	global_load_b64 v[16:17], v12, s[8:9] offset:32 scope:SCOPE_SYS
	global_load_b64 v[2:3], v12, s[8:9] offset:40
	s_wait_loadcnt 0x0
	v_dual_mov_b32 v14, s10 :: v_dual_bitop2_b32 v3, s11, v3 bitop3:0x40
	v_and_b32_e32 v2, s10, v2
	s_delay_alu instid0(VALU_DEP_1) | instskip(NEXT) | instid1(VALU_DEP_1)
	v_mul_u64_e32 v[2:3], 24, v[2:3]
	v_add_nc_u64_e32 v[10:11], v[4:5], v[2:3]
	global_store_b64 v[10:11], v[16:17], off
	global_wb scope:SCOPE_SYS
	s_wait_storecnt 0x0
	s_wait_xcnt 0x0
	global_atomic_cmpswap_b64 v[4:5], v12, v[14:17], s[8:9] offset:32 th:TH_ATOMIC_RETURN scope:SCOPE_SYS
	s_wait_loadcnt 0x0
	v_cmpx_ne_u64_e64 v[4:5], v[16:17]
	s_cbranch_execz .LBB2_19
; %bb.17:
	s_mov_b32 s14, 0
.LBB2_18:                               ; =>This Inner Loop Header: Depth=1
	v_dual_mov_b32 v2, s10 :: v_dual_mov_b32 v3, s11
	s_sleep 1
	global_store_b64 v[10:11], v[4:5], off
	global_wb scope:SCOPE_SYS
	s_wait_storecnt 0x0
	s_wait_xcnt 0x0
	global_atomic_cmpswap_b64 v[2:3], v12, v[2:5], s[8:9] offset:32 th:TH_ATOMIC_RETURN scope:SCOPE_SYS
	s_wait_loadcnt 0x0
	v_cmp_eq_u64_e32 vcc_lo, v[2:3], v[4:5]
	v_mov_b64_e32 v[4:5], v[2:3]
	s_or_b32 s14, vcc_lo, s14
	s_delay_alu instid0(SALU_CYCLE_1)
	s_and_not1_b32 exec_lo, exec_lo, s14
	s_cbranch_execnz .LBB2_18
.LBB2_19:
	s_or_b32 exec_lo, exec_lo, s13
	v_mov_b32_e32 v5, 0
	s_mov_b32 s14, exec_lo
	s_mov_b32 s13, exec_lo
	v_mbcnt_lo_u32_b32 v4, s14, 0
	global_load_b64 v[2:3], v5, s[8:9] offset:16
	s_wait_xcnt 0x0
	v_cmpx_eq_u32_e32 0, v4
	s_cbranch_execz .LBB2_21
; %bb.20:
	s_bcnt1_i32_b32 s14, s14
	s_delay_alu instid0(SALU_CYCLE_1)
	v_mov_b32_e32 v4, s14
	global_wb scope:SCOPE_SYS
	s_wait_loadcnt 0x0
	s_wait_storecnt 0x0
	global_atomic_add_u64 v[2:3], v[4:5], off offset:8 scope:SCOPE_SYS
.LBB2_21:
	s_wait_xcnt 0x0
	s_or_b32 exec_lo, exec_lo, s13
	s_wait_loadcnt 0x0
	global_load_b64 v[4:5], v[2:3], off offset:16
	s_wait_loadcnt 0x0
	v_cmp_eq_u64_e32 vcc_lo, 0, v[4:5]
	s_cbranch_vccnz .LBB2_23
; %bb.22:
	global_load_b32 v2, v[2:3], off offset:24
	s_wait_xcnt 0x0
	v_mov_b32_e32 v3, 0
	s_wait_loadcnt 0x0
	v_readfirstlane_b32 s13, v2
	global_wb scope:SCOPE_SYS
	s_wait_storecnt 0x0
	global_store_b64 v[4:5], v[2:3], off scope:SCOPE_SYS
	s_and_b32 m0, s13, 0xffffff
	s_sendmsg sendmsg(MSG_INTERRUPT)
.LBB2_23:
	s_wait_xcnt 0x0
	s_or_b32 exec_lo, exec_lo, s12
	v_add_nc_u64_e32 v[2:3], v[6:7], v[0:1]
	s_branch .LBB2_27
.LBB2_24:                               ;   in Loop: Header=BB2_27 Depth=1
	s_wait_xcnt 0x0
	s_or_b32 exec_lo, exec_lo, s12
	s_delay_alu instid0(VALU_DEP_1)
	v_readfirstlane_b32 s12, v1
	s_cmp_eq_u32 s12, 0
	s_cbranch_scc1 .LBB2_26
; %bb.25:                               ;   in Loop: Header=BB2_27 Depth=1
	s_sleep 1
	s_cbranch_execnz .LBB2_27
	s_branch .LBB2_29
.LBB2_26:
	s_branch .LBB2_29
.LBB2_27:                               ; =>This Inner Loop Header: Depth=1
	v_mov_b32_e32 v1, 1
	s_and_saveexec_b32 s12, s3
	s_cbranch_execz .LBB2_24
; %bb.28:                               ;   in Loop: Header=BB2_27 Depth=1
	global_load_b32 v1, v[8:9], off offset:20 scope:SCOPE_SYS
	s_wait_loadcnt 0x0
	global_inv scope:SCOPE_SYS
	v_and_b32_e32 v1, 1, v1
	s_branch .LBB2_24
.LBB2_29:
	global_load_b64 v[2:3], v[2:3], off
	s_wait_xcnt 0x0
	s_and_saveexec_b32 s12, s3
	s_cbranch_execz .LBB2_33
; %bb.30:
	v_mov_b32_e32 v1, 0
	s_clause 0x2
	global_load_b64 v[4:5], v1, s[8:9] offset:40
	global_load_b64 v[12:13], v1, s[8:9] offset:24 scope:SCOPE_SYS
	global_load_b64 v[6:7], v1, s[8:9]
	s_wait_loadcnt 0x2
	v_readfirstlane_b32 s14, v4
	v_readfirstlane_b32 s15, v5
	s_add_nc_u64 s[16:17], s[14:15], 1
	s_delay_alu instid0(SALU_CYCLE_1) | instskip(NEXT) | instid1(SALU_CYCLE_1)
	s_add_nc_u64 s[10:11], s[16:17], s[10:11]
	s_cmp_eq_u64 s[10:11], 0
	s_cselect_b32 s11, s17, s11
	s_cselect_b32 s10, s16, s10
	v_mov_b32_e32 v11, s11
	s_and_b64 s[14:15], s[10:11], s[14:15]
	v_mov_b32_e32 v10, s10
	s_mul_u64 s[14:15], s[14:15], 24
	s_wait_loadcnt 0x0
	v_add_nc_u64_e32 v[8:9], s[14:15], v[6:7]
	global_store_b64 v[8:9], v[12:13], off
	global_wb scope:SCOPE_SYS
	s_wait_storecnt 0x0
	s_wait_xcnt 0x0
	global_atomic_cmpswap_b64 v[6:7], v1, v[10:13], s[8:9] offset:24 th:TH_ATOMIC_RETURN scope:SCOPE_SYS
	s_wait_loadcnt 0x0
	v_cmp_ne_u64_e32 vcc_lo, v[6:7], v[12:13]
	s_and_b32 exec_lo, exec_lo, vcc_lo
	s_cbranch_execz .LBB2_33
; %bb.31:
	s_mov_b32 s3, 0
.LBB2_32:                               ; =>This Inner Loop Header: Depth=1
	v_dual_mov_b32 v4, s10 :: v_dual_mov_b32 v5, s11
	s_sleep 1
	global_store_b64 v[8:9], v[6:7], off
	global_wb scope:SCOPE_SYS
	s_wait_storecnt 0x0
	s_wait_xcnt 0x0
	global_atomic_cmpswap_b64 v[4:5], v1, v[4:7], s[8:9] offset:24 th:TH_ATOMIC_RETURN scope:SCOPE_SYS
	s_wait_loadcnt 0x0
	v_cmp_eq_u64_e32 vcc_lo, v[4:5], v[6:7]
	v_mov_b64_e32 v[6:7], v[4:5]
	s_or_b32 s3, vcc_lo, s3
	s_delay_alu instid0(SALU_CYCLE_1)
	s_and_not1_b32 exec_lo, exec_lo, s3
	s_cbranch_execnz .LBB2_32
.LBB2_33:
	s_or_b32 exec_lo, exec_lo, s12
	s_get_pc_i64 s[10:11]
	s_add_nc_u64 s[10:11], s[10:11], .str.8@rel64+4
	s_delay_alu instid0(SALU_CYCLE_1)
	s_cmp_lg_u64 s[10:11], 0
	s_cbranch_scc0 .LBB2_112
; %bb.34:
	v_mov_b64_e32 v[10:11], 0x100000002
	s_wait_loadcnt 0x0
	v_dual_mov_b32 v9, 0 :: v_dual_bitop2_b32 v28, 2, v2 bitop3:0x40
	v_dual_mov_b32 v5, v3 :: v_dual_bitop2_b32 v4, -3, v2 bitop3:0x40
	s_mov_b64 s[12:13], 0x4d
	s_branch .LBB2_36
.LBB2_35:                               ;   in Loop: Header=BB2_36 Depth=1
	s_or_b32 exec_lo, exec_lo, s18
	s_sub_nc_u64 s[12:13], s[12:13], s[14:15]
	s_add_nc_u64 s[10:11], s[10:11], s[14:15]
	s_cmp_lg_u64 s[12:13], 0
	s_cbranch_scc0 .LBB2_111
.LBB2_36:                               ; =>This Loop Header: Depth=1
                                        ;     Child Loop BB2_39 Depth 2
                                        ;     Child Loop BB2_46 Depth 2
	;; [unrolled: 1-line block ×11, first 2 shown]
	v_min_u64 v[6:7], s[12:13], 56
	v_cmp_gt_u64_e64 s3, s[12:13], 7
	s_and_b32 vcc_lo, exec_lo, s3
	v_readfirstlane_b32 s14, v6
	v_readfirstlane_b32 s15, v7
	s_cbranch_vccnz .LBB2_41
; %bb.37:                               ;   in Loop: Header=BB2_36 Depth=1
	v_mov_b64_e32 v[6:7], 0
	s_cmp_eq_u64 s[12:13], 0
	s_cbranch_scc1 .LBB2_40
; %bb.38:                               ;   in Loop: Header=BB2_36 Depth=1
	s_mov_b64 s[16:17], 0
	s_mov_b64 s[18:19], 0
.LBB2_39:                               ;   Parent Loop BB2_36 Depth=1
                                        ; =>  This Inner Loop Header: Depth=2
	s_wait_xcnt 0x0
	s_add_nc_u64 s[20:21], s[10:11], s[18:19]
	s_add_nc_u64 s[18:19], s[18:19], 1
	global_load_u8 v1, v9, s[20:21]
	s_cmp_lg_u32 s14, s18
	s_wait_loadcnt 0x0
	v_and_b32_e32 v8, 0xffff, v1
	s_delay_alu instid0(VALU_DEP_1) | instskip(SKIP_1) | instid1(VALU_DEP_1)
	v_lshlrev_b64_e32 v[12:13], s16, v[8:9]
	s_add_nc_u64 s[16:17], s[16:17], 8
	v_or_b32_e32 v6, v12, v6
	s_delay_alu instid0(VALU_DEP_2)
	v_or_b32_e32 v7, v13, v7
	s_cbranch_scc1 .LBB2_39
.LBB2_40:                               ;   in Loop: Header=BB2_36 Depth=1
	s_mov_b64 s[18:19], s[10:11]
	s_mov_b32 s3, 0
	s_cbranch_execz .LBB2_42
	s_branch .LBB2_43
.LBB2_41:                               ;   in Loop: Header=BB2_36 Depth=1
	s_add_nc_u64 s[18:19], s[10:11], 8
	s_mov_b32 s3, 0
.LBB2_42:                               ;   in Loop: Header=BB2_36 Depth=1
	global_load_b64 v[6:7], v9, s[10:11]
	s_add_co_i32 s3, s14, -8
.LBB2_43:                               ;   in Loop: Header=BB2_36 Depth=1
	s_delay_alu instid0(SALU_CYCLE_1)
	s_cmp_gt_u32 s3, 7
	s_cbranch_scc1 .LBB2_48
; %bb.44:                               ;   in Loop: Header=BB2_36 Depth=1
	v_mov_b64_e32 v[12:13], 0
	s_cmp_eq_u32 s3, 0
	s_cbranch_scc1 .LBB2_47
; %bb.45:                               ;   in Loop: Header=BB2_36 Depth=1
	s_mov_b64 s[16:17], 0
	s_wait_xcnt 0x0
	s_mov_b64 s[20:21], 0
.LBB2_46:                               ;   Parent Loop BB2_36 Depth=1
                                        ; =>  This Inner Loop Header: Depth=2
	s_wait_xcnt 0x0
	s_add_nc_u64 s[24:25], s[18:19], s[20:21]
	s_add_nc_u64 s[20:21], s[20:21], 1
	global_load_u8 v1, v9, s[24:25]
	s_cmp_lg_u32 s3, s20
	s_wait_loadcnt 0x0
	v_and_b32_e32 v8, 0xffff, v1
	s_delay_alu instid0(VALU_DEP_1) | instskip(SKIP_1) | instid1(VALU_DEP_1)
	v_lshlrev_b64_e32 v[14:15], s16, v[8:9]
	s_add_nc_u64 s[16:17], s[16:17], 8
	v_or_b32_e32 v12, v14, v12
	s_delay_alu instid0(VALU_DEP_2)
	v_or_b32_e32 v13, v15, v13
	s_cbranch_scc1 .LBB2_46
.LBB2_47:                               ;   in Loop: Header=BB2_36 Depth=1
	s_wait_xcnt 0x0
	s_mov_b64 s[16:17], s[18:19]
	s_mov_b32 s24, 0
	s_cbranch_execz .LBB2_49
	s_branch .LBB2_50
.LBB2_48:                               ;   in Loop: Header=BB2_36 Depth=1
	s_add_nc_u64 s[16:17], s[18:19], 8
	s_wait_xcnt 0x0
                                        ; implicit-def: $vgpr12_vgpr13
	s_mov_b32 s24, 0
.LBB2_49:                               ;   in Loop: Header=BB2_36 Depth=1
	global_load_b64 v[12:13], v9, s[18:19]
	s_add_co_i32 s24, s3, -8
.LBB2_50:                               ;   in Loop: Header=BB2_36 Depth=1
	s_delay_alu instid0(SALU_CYCLE_1)
	s_cmp_gt_u32 s24, 7
	s_cbranch_scc1 .LBB2_55
; %bb.51:                               ;   in Loop: Header=BB2_36 Depth=1
	v_mov_b64_e32 v[14:15], 0
	s_cmp_eq_u32 s24, 0
	s_cbranch_scc1 .LBB2_54
; %bb.52:                               ;   in Loop: Header=BB2_36 Depth=1
	s_wait_xcnt 0x0
	s_mov_b64 s[18:19], 0
	s_mov_b64 s[20:21], 0
.LBB2_53:                               ;   Parent Loop BB2_36 Depth=1
                                        ; =>  This Inner Loop Header: Depth=2
	s_wait_xcnt 0x0
	s_add_nc_u64 s[26:27], s[16:17], s[20:21]
	s_add_nc_u64 s[20:21], s[20:21], 1
	global_load_u8 v1, v9, s[26:27]
	s_cmp_lg_u32 s24, s20
	s_wait_loadcnt 0x0
	v_and_b32_e32 v8, 0xffff, v1
	s_delay_alu instid0(VALU_DEP_1) | instskip(SKIP_1) | instid1(VALU_DEP_1)
	v_lshlrev_b64_e32 v[16:17], s18, v[8:9]
	s_add_nc_u64 s[18:19], s[18:19], 8
	v_or_b32_e32 v14, v16, v14
	s_delay_alu instid0(VALU_DEP_2)
	v_or_b32_e32 v15, v17, v15
	s_cbranch_scc1 .LBB2_53
.LBB2_54:                               ;   in Loop: Header=BB2_36 Depth=1
	s_wait_xcnt 0x0
	s_mov_b64 s[18:19], s[16:17]
	s_mov_b32 s3, 0
	s_cbranch_execz .LBB2_56
	s_branch .LBB2_57
.LBB2_55:                               ;   in Loop: Header=BB2_36 Depth=1
	s_wait_xcnt 0x0
	s_add_nc_u64 s[18:19], s[16:17], 8
	s_mov_b32 s3, 0
.LBB2_56:                               ;   in Loop: Header=BB2_36 Depth=1
	global_load_b64 v[14:15], v9, s[16:17]
	s_add_co_i32 s3, s24, -8
.LBB2_57:                               ;   in Loop: Header=BB2_36 Depth=1
	s_delay_alu instid0(SALU_CYCLE_1)
	s_cmp_gt_u32 s3, 7
	s_cbranch_scc1 .LBB2_62
; %bb.58:                               ;   in Loop: Header=BB2_36 Depth=1
	v_mov_b64_e32 v[16:17], 0
	s_cmp_eq_u32 s3, 0
	s_cbranch_scc1 .LBB2_61
; %bb.59:                               ;   in Loop: Header=BB2_36 Depth=1
	s_wait_xcnt 0x0
	s_mov_b64 s[16:17], 0
	s_mov_b64 s[20:21], 0
.LBB2_60:                               ;   Parent Loop BB2_36 Depth=1
                                        ; =>  This Inner Loop Header: Depth=2
	s_wait_xcnt 0x0
	s_add_nc_u64 s[24:25], s[18:19], s[20:21]
	s_add_nc_u64 s[20:21], s[20:21], 1
	global_load_u8 v1, v9, s[24:25]
	s_cmp_lg_u32 s3, s20
	s_wait_loadcnt 0x0
	v_and_b32_e32 v8, 0xffff, v1
	s_delay_alu instid0(VALU_DEP_1) | instskip(SKIP_1) | instid1(VALU_DEP_1)
	v_lshlrev_b64_e32 v[18:19], s16, v[8:9]
	s_add_nc_u64 s[16:17], s[16:17], 8
	v_or_b32_e32 v16, v18, v16
	s_delay_alu instid0(VALU_DEP_2)
	v_or_b32_e32 v17, v19, v17
	s_cbranch_scc1 .LBB2_60
.LBB2_61:                               ;   in Loop: Header=BB2_36 Depth=1
	s_wait_xcnt 0x0
	s_mov_b64 s[16:17], s[18:19]
	s_mov_b32 s24, 0
	s_cbranch_execz .LBB2_63
	s_branch .LBB2_64
.LBB2_62:                               ;   in Loop: Header=BB2_36 Depth=1
	s_wait_xcnt 0x0
	s_add_nc_u64 s[16:17], s[18:19], 8
                                        ; implicit-def: $vgpr16_vgpr17
	s_mov_b32 s24, 0
.LBB2_63:                               ;   in Loop: Header=BB2_36 Depth=1
	global_load_b64 v[16:17], v9, s[18:19]
	s_add_co_i32 s24, s3, -8
.LBB2_64:                               ;   in Loop: Header=BB2_36 Depth=1
	s_delay_alu instid0(SALU_CYCLE_1)
	s_cmp_gt_u32 s24, 7
	s_cbranch_scc1 .LBB2_69
; %bb.65:                               ;   in Loop: Header=BB2_36 Depth=1
	v_mov_b64_e32 v[18:19], 0
	s_cmp_eq_u32 s24, 0
	s_cbranch_scc1 .LBB2_68
; %bb.66:                               ;   in Loop: Header=BB2_36 Depth=1
	s_wait_xcnt 0x0
	s_mov_b64 s[18:19], 0
	s_mov_b64 s[20:21], 0
.LBB2_67:                               ;   Parent Loop BB2_36 Depth=1
                                        ; =>  This Inner Loop Header: Depth=2
	s_wait_xcnt 0x0
	s_add_nc_u64 s[26:27], s[16:17], s[20:21]
	s_add_nc_u64 s[20:21], s[20:21], 1
	global_load_u8 v1, v9, s[26:27]
	s_cmp_lg_u32 s24, s20
	s_wait_loadcnt 0x0
	v_and_b32_e32 v8, 0xffff, v1
	s_delay_alu instid0(VALU_DEP_1) | instskip(SKIP_1) | instid1(VALU_DEP_1)
	v_lshlrev_b64_e32 v[20:21], s18, v[8:9]
	s_add_nc_u64 s[18:19], s[18:19], 8
	v_or_b32_e32 v18, v20, v18
	s_delay_alu instid0(VALU_DEP_2)
	v_or_b32_e32 v19, v21, v19
	s_cbranch_scc1 .LBB2_67
.LBB2_68:                               ;   in Loop: Header=BB2_36 Depth=1
	s_wait_xcnt 0x0
	s_mov_b64 s[18:19], s[16:17]
	s_mov_b32 s3, 0
	s_cbranch_execz .LBB2_70
	s_branch .LBB2_71
.LBB2_69:                               ;   in Loop: Header=BB2_36 Depth=1
	s_wait_xcnt 0x0
	s_add_nc_u64 s[18:19], s[16:17], 8
	s_mov_b32 s3, 0
.LBB2_70:                               ;   in Loop: Header=BB2_36 Depth=1
	global_load_b64 v[18:19], v9, s[16:17]
	s_add_co_i32 s3, s24, -8
.LBB2_71:                               ;   in Loop: Header=BB2_36 Depth=1
	s_delay_alu instid0(SALU_CYCLE_1)
	s_cmp_gt_u32 s3, 7
	s_cbranch_scc1 .LBB2_76
; %bb.72:                               ;   in Loop: Header=BB2_36 Depth=1
	v_mov_b64_e32 v[20:21], 0
	s_cmp_eq_u32 s3, 0
	s_cbranch_scc1 .LBB2_75
; %bb.73:                               ;   in Loop: Header=BB2_36 Depth=1
	s_wait_xcnt 0x0
	s_mov_b64 s[16:17], 0
	s_mov_b64 s[20:21], 0
.LBB2_74:                               ;   Parent Loop BB2_36 Depth=1
                                        ; =>  This Inner Loop Header: Depth=2
	s_wait_xcnt 0x0
	s_add_nc_u64 s[24:25], s[18:19], s[20:21]
	s_add_nc_u64 s[20:21], s[20:21], 1
	global_load_u8 v1, v9, s[24:25]
	s_cmp_lg_u32 s3, s20
	s_wait_loadcnt 0x0
	v_and_b32_e32 v8, 0xffff, v1
	s_delay_alu instid0(VALU_DEP_1) | instskip(SKIP_1) | instid1(VALU_DEP_1)
	v_lshlrev_b64_e32 v[22:23], s16, v[8:9]
	s_add_nc_u64 s[16:17], s[16:17], 8
	v_or_b32_e32 v20, v22, v20
	s_delay_alu instid0(VALU_DEP_2)
	v_or_b32_e32 v21, v23, v21
	s_cbranch_scc1 .LBB2_74
.LBB2_75:                               ;   in Loop: Header=BB2_36 Depth=1
	s_wait_xcnt 0x0
	s_mov_b64 s[16:17], s[18:19]
	s_mov_b32 s24, 0
	s_cbranch_execz .LBB2_77
	s_branch .LBB2_78
.LBB2_76:                               ;   in Loop: Header=BB2_36 Depth=1
	s_wait_xcnt 0x0
	s_add_nc_u64 s[16:17], s[18:19], 8
                                        ; implicit-def: $vgpr20_vgpr21
	s_mov_b32 s24, 0
.LBB2_77:                               ;   in Loop: Header=BB2_36 Depth=1
	global_load_b64 v[20:21], v9, s[18:19]
	s_add_co_i32 s24, s3, -8
.LBB2_78:                               ;   in Loop: Header=BB2_36 Depth=1
	s_delay_alu instid0(SALU_CYCLE_1)
	s_cmp_gt_u32 s24, 7
	s_cbranch_scc1 .LBB2_83
; %bb.79:                               ;   in Loop: Header=BB2_36 Depth=1
	v_mov_b64_e32 v[22:23], 0
	s_cmp_eq_u32 s24, 0
	s_cbranch_scc1 .LBB2_82
; %bb.80:                               ;   in Loop: Header=BB2_36 Depth=1
	s_wait_xcnt 0x0
	s_mov_b64 s[18:19], 0
	s_mov_b64 s[20:21], s[16:17]
.LBB2_81:                               ;   Parent Loop BB2_36 Depth=1
                                        ; =>  This Inner Loop Header: Depth=2
	global_load_u8 v1, v9, s[20:21]
	s_add_co_i32 s24, s24, -1
	s_wait_xcnt 0x0
	s_add_nc_u64 s[20:21], s[20:21], 1
	s_cmp_lg_u32 s24, 0
	s_wait_loadcnt 0x0
	v_and_b32_e32 v8, 0xffff, v1
	s_delay_alu instid0(VALU_DEP_1) | instskip(SKIP_1) | instid1(VALU_DEP_1)
	v_lshlrev_b64_e32 v[24:25], s18, v[8:9]
	s_add_nc_u64 s[18:19], s[18:19], 8
	v_or_b32_e32 v22, v24, v22
	s_delay_alu instid0(VALU_DEP_2)
	v_or_b32_e32 v23, v25, v23
	s_cbranch_scc1 .LBB2_81
.LBB2_82:                               ;   in Loop: Header=BB2_36 Depth=1
	s_cbranch_execz .LBB2_84
	s_branch .LBB2_85
.LBB2_83:                               ;   in Loop: Header=BB2_36 Depth=1
.LBB2_84:                               ;   in Loop: Header=BB2_36 Depth=1
	global_load_b64 v[22:23], v9, s[16:17]
.LBB2_85:                               ;   in Loop: Header=BB2_36 Depth=1
	v_readfirstlane_b32 s3, v29
	v_mov_b64_e32 v[30:31], 0
	s_delay_alu instid0(VALU_DEP_2)
	v_cmp_eq_u32_e64 s3, s3, v29
	s_wait_xcnt 0x0
	s_and_saveexec_b32 s16, s3
	s_cbranch_execz .LBB2_91
; %bb.86:                               ;   in Loop: Header=BB2_36 Depth=1
	global_load_b64 v[26:27], v9, s[8:9] offset:24 scope:SCOPE_SYS
	s_wait_loadcnt 0x0
	global_inv scope:SCOPE_SYS
	s_clause 0x1
	global_load_b64 v[24:25], v9, s[8:9] offset:40
	global_load_b64 v[30:31], v9, s[8:9]
	s_mov_b32 s17, exec_lo
	s_wait_loadcnt 0x1
	v_and_b32_e32 v24, v24, v26
	v_and_b32_e32 v25, v25, v27
	s_delay_alu instid0(VALU_DEP_1) | instskip(SKIP_1) | instid1(VALU_DEP_1)
	v_mul_u64_e32 v[24:25], 24, v[24:25]
	s_wait_loadcnt 0x0
	v_add_nc_u64_e32 v[24:25], v[30:31], v[24:25]
	global_load_b64 v[24:25], v[24:25], off scope:SCOPE_SYS
	s_wait_xcnt 0x0
	s_wait_loadcnt 0x0
	global_atomic_cmpswap_b64 v[30:31], v9, v[24:27], s[8:9] offset:24 th:TH_ATOMIC_RETURN scope:SCOPE_SYS
	s_wait_loadcnt 0x0
	global_inv scope:SCOPE_SYS
	s_wait_xcnt 0x0
	v_cmpx_ne_u64_e64 v[30:31], v[26:27]
	s_cbranch_execz .LBB2_90
; %bb.87:                               ;   in Loop: Header=BB2_36 Depth=1
	s_mov_b32 s18, 0
.LBB2_88:                               ;   Parent Loop BB2_36 Depth=1
                                        ; =>  This Inner Loop Header: Depth=2
	s_sleep 1
	s_clause 0x1
	global_load_b64 v[24:25], v9, s[8:9] offset:40
	global_load_b64 v[34:35], v9, s[8:9]
	v_mov_b64_e32 v[26:27], v[30:31]
	s_wait_loadcnt 0x1
	s_delay_alu instid0(VALU_DEP_1) | instskip(SKIP_1) | instid1(VALU_DEP_1)
	v_and_b32_e32 v1, v24, v26
	s_wait_loadcnt 0x0
	v_mad_nc_u64_u32 v[30:31], v1, 24, v[34:35]
	s_delay_alu instid0(VALU_DEP_3) | instskip(NEXT) | instid1(VALU_DEP_1)
	v_and_b32_e32 v1, v25, v27
	v_mad_u32 v31, v1, 24, v31
	global_load_b64 v[24:25], v[30:31], off scope:SCOPE_SYS
	s_wait_xcnt 0x0
	s_wait_loadcnt 0x0
	global_atomic_cmpswap_b64 v[30:31], v9, v[24:27], s[8:9] offset:24 th:TH_ATOMIC_RETURN scope:SCOPE_SYS
	s_wait_loadcnt 0x0
	global_inv scope:SCOPE_SYS
	v_cmp_eq_u64_e32 vcc_lo, v[30:31], v[26:27]
	s_or_b32 s18, vcc_lo, s18
	s_wait_xcnt 0x0
	s_and_not1_b32 exec_lo, exec_lo, s18
	s_cbranch_execnz .LBB2_88
; %bb.89:                               ;   in Loop: Header=BB2_36 Depth=1
	s_or_b32 exec_lo, exec_lo, s18
.LBB2_90:                               ;   in Loop: Header=BB2_36 Depth=1
	s_delay_alu instid0(SALU_CYCLE_1)
	s_or_b32 exec_lo, exec_lo, s17
.LBB2_91:                               ;   in Loop: Header=BB2_36 Depth=1
	s_delay_alu instid0(SALU_CYCLE_1)
	s_or_b32 exec_lo, exec_lo, s16
	s_clause 0x1
	global_load_b64 v[34:35], v9, s[8:9] offset:40
	global_load_b128 v[24:27], v9, s[8:9]
	v_readfirstlane_b32 s16, v30
	v_readfirstlane_b32 s17, v31
	s_mov_b32 s18, exec_lo
	s_wait_loadcnt 0x1
	v_and_b32_e32 v34, s16, v34
	v_and_b32_e32 v35, s17, v35
	s_delay_alu instid0(VALU_DEP_1) | instskip(SKIP_1) | instid1(VALU_DEP_1)
	v_mul_u64_e32 v[30:31], 24, v[34:35]
	s_wait_loadcnt 0x0
	v_add_nc_u64_e32 v[30:31], v[24:25], v[30:31]
	s_wait_xcnt 0x0
	s_and_saveexec_b32 s19, s3
	s_cbranch_execz .LBB2_93
; %bb.92:                               ;   in Loop: Header=BB2_36 Depth=1
	v_mov_b32_e32 v8, s18
	global_store_b128 v[30:31], v[8:11], off offset:8
.LBB2_93:                               ;   in Loop: Header=BB2_36 Depth=1
	s_wait_xcnt 0x0
	s_or_b32 exec_lo, exec_lo, s19
	v_cmp_lt_u64_e64 vcc_lo, s[12:13], 57
	v_lshlrev_b64_e32 v[34:35], 12, v[34:35]
	v_and_b32_e32 v4, 0xffffff1f, v4
	s_lshl_b32 s18, s14, 2
	s_delay_alu instid0(SALU_CYCLE_1) | instskip(SKIP_1) | instid1(VALU_DEP_3)
	s_add_co_i32 s18, s18, 28
	v_cndmask_b32_e32 v1, 0, v28, vcc_lo
	v_add_nc_u64_e32 v[26:27], v[26:27], v[34:35]
	s_delay_alu instid0(VALU_DEP_2) | instskip(NEXT) | instid1(VALU_DEP_2)
	v_or_b32_e32 v1, v4, v1
	v_readfirstlane_b32 s19, v27
	s_delay_alu instid0(VALU_DEP_2) | instskip(NEXT) | instid1(VALU_DEP_4)
	v_and_or_b32 v4, 0x1e0, s18, v1
	v_readfirstlane_b32 s18, v26
	s_clause 0x3
	global_store_b128 v0, v[4:7], s[18:19]
	global_store_b128 v0, v[12:15], s[18:19] offset:16
	global_store_b128 v0, v[16:19], s[18:19] offset:32
	;; [unrolled: 1-line block ×3, first 2 shown]
	s_wait_xcnt 0x0
	s_and_saveexec_b32 s18, s3
	s_cbranch_execz .LBB2_101
; %bb.94:                               ;   in Loop: Header=BB2_36 Depth=1
	s_clause 0x1
	global_load_b64 v[16:17], v9, s[8:9] offset:32 scope:SCOPE_SYS
	global_load_b64 v[4:5], v9, s[8:9] offset:40
	s_mov_b32 s19, exec_lo
	v_dual_mov_b32 v14, s16 :: v_dual_mov_b32 v15, s17
	s_wait_loadcnt 0x0
	v_and_b32_e32 v5, s17, v5
	v_and_b32_e32 v4, s16, v4
	s_delay_alu instid0(VALU_DEP_1) | instskip(NEXT) | instid1(VALU_DEP_1)
	v_mul_u64_e32 v[4:5], 24, v[4:5]
	v_add_nc_u64_e32 v[12:13], v[24:25], v[4:5]
	global_store_b64 v[12:13], v[16:17], off
	global_wb scope:SCOPE_SYS
	s_wait_storecnt 0x0
	s_wait_xcnt 0x0
	global_atomic_cmpswap_b64 v[6:7], v9, v[14:17], s[8:9] offset:32 th:TH_ATOMIC_RETURN scope:SCOPE_SYS
	s_wait_loadcnt 0x0
	v_cmpx_ne_u64_e64 v[6:7], v[16:17]
	s_cbranch_execz .LBB2_97
; %bb.95:                               ;   in Loop: Header=BB2_36 Depth=1
	s_mov_b32 s20, 0
.LBB2_96:                               ;   Parent Loop BB2_36 Depth=1
                                        ; =>  This Inner Loop Header: Depth=2
	v_dual_mov_b32 v4, s16 :: v_dual_mov_b32 v5, s17
	s_sleep 1
	global_store_b64 v[12:13], v[6:7], off
	global_wb scope:SCOPE_SYS
	s_wait_storecnt 0x0
	s_wait_xcnt 0x0
	global_atomic_cmpswap_b64 v[4:5], v9, v[4:7], s[8:9] offset:32 th:TH_ATOMIC_RETURN scope:SCOPE_SYS
	s_wait_loadcnt 0x0
	v_cmp_eq_u64_e32 vcc_lo, v[4:5], v[6:7]
	v_mov_b64_e32 v[6:7], v[4:5]
	s_or_b32 s20, vcc_lo, s20
	s_delay_alu instid0(SALU_CYCLE_1)
	s_and_not1_b32 exec_lo, exec_lo, s20
	s_cbranch_execnz .LBB2_96
.LBB2_97:                               ;   in Loop: Header=BB2_36 Depth=1
	s_or_b32 exec_lo, exec_lo, s19
	global_load_b64 v[4:5], v9, s[8:9] offset:16
	s_mov_b32 s20, exec_lo
	s_mov_b32 s19, exec_lo
	v_mbcnt_lo_u32_b32 v1, s20, 0
	s_wait_xcnt 0x0
	s_delay_alu instid0(VALU_DEP_1)
	v_cmpx_eq_u32_e32 0, v1
	s_cbranch_execz .LBB2_99
; %bb.98:                               ;   in Loop: Header=BB2_36 Depth=1
	s_bcnt1_i32_b32 s20, s20
	s_delay_alu instid0(SALU_CYCLE_1)
	v_mov_b32_e32 v8, s20
	global_wb scope:SCOPE_SYS
	s_wait_loadcnt 0x0
	s_wait_storecnt 0x0
	global_atomic_add_u64 v[4:5], v[8:9], off offset:8 scope:SCOPE_SYS
.LBB2_99:                               ;   in Loop: Header=BB2_36 Depth=1
	s_wait_xcnt 0x0
	s_or_b32 exec_lo, exec_lo, s19
	s_wait_loadcnt 0x0
	global_load_b64 v[6:7], v[4:5], off offset:16
	s_wait_loadcnt 0x0
	v_cmp_eq_u64_e32 vcc_lo, 0, v[6:7]
	s_cbranch_vccnz .LBB2_101
; %bb.100:                              ;   in Loop: Header=BB2_36 Depth=1
	global_load_b32 v8, v[4:5], off offset:24
	s_wait_loadcnt 0x0
	v_readfirstlane_b32 s19, v8
	global_wb scope:SCOPE_SYS
	s_wait_storecnt 0x0
	s_wait_xcnt 0x0
	global_store_b64 v[6:7], v[8:9], off scope:SCOPE_SYS
	s_and_b32 m0, s19, 0xffffff
	s_sendmsg sendmsg(MSG_INTERRUPT)
.LBB2_101:                              ;   in Loop: Header=BB2_36 Depth=1
	s_wait_xcnt 0x0
	s_or_b32 exec_lo, exec_lo, s18
	v_mov_b32_e32 v1, v9
	s_delay_alu instid0(VALU_DEP_1)
	v_add_nc_u64_e32 v[4:5], v[26:27], v[0:1]
	s_branch .LBB2_105
.LBB2_102:                              ;   in Loop: Header=BB2_105 Depth=2
	s_wait_xcnt 0x0
	s_or_b32 exec_lo, exec_lo, s18
	s_delay_alu instid0(VALU_DEP_1)
	v_readfirstlane_b32 s18, v1
	s_cmp_eq_u32 s18, 0
	s_cbranch_scc1 .LBB2_104
; %bb.103:                              ;   in Loop: Header=BB2_105 Depth=2
	s_sleep 1
	s_cbranch_execnz .LBB2_105
	s_branch .LBB2_107
.LBB2_104:                              ;   in Loop: Header=BB2_36 Depth=1
	s_branch .LBB2_107
.LBB2_105:                              ;   Parent Loop BB2_36 Depth=1
                                        ; =>  This Inner Loop Header: Depth=2
	v_mov_b32_e32 v1, 1
	s_and_saveexec_b32 s18, s3
	s_cbranch_execz .LBB2_102
; %bb.106:                              ;   in Loop: Header=BB2_105 Depth=2
	global_load_b32 v1, v[30:31], off offset:20 scope:SCOPE_SYS
	s_wait_loadcnt 0x0
	global_inv scope:SCOPE_SYS
	v_and_b32_e32 v1, 1, v1
	s_branch .LBB2_102
.LBB2_107:                              ;   in Loop: Header=BB2_36 Depth=1
	global_load_b64 v[4:5], v[4:5], off
	s_wait_xcnt 0x0
	s_and_saveexec_b32 s18, s3
	s_cbranch_execz .LBB2_35
; %bb.108:                              ;   in Loop: Header=BB2_36 Depth=1
	s_clause 0x2
	global_load_b64 v[6:7], v9, s[8:9] offset:40
	global_load_b64 v[16:17], v9, s[8:9] offset:24 scope:SCOPE_SYS
	global_load_b64 v[12:13], v9, s[8:9]
	s_wait_loadcnt 0x2
	v_readfirstlane_b32 s20, v6
	v_readfirstlane_b32 s21, v7
	s_add_nc_u64 s[24:25], s[20:21], 1
	s_delay_alu instid0(SALU_CYCLE_1) | instskip(NEXT) | instid1(SALU_CYCLE_1)
	s_add_nc_u64 s[16:17], s[24:25], s[16:17]
	s_cmp_eq_u64 s[16:17], 0
	s_cselect_b32 s17, s25, s17
	s_cselect_b32 s16, s24, s16
	s_delay_alu instid0(SALU_CYCLE_1) | instskip(SKIP_1) | instid1(SALU_CYCLE_1)
	v_dual_mov_b32 v15, s17 :: v_dual_mov_b32 v14, s16
	s_and_b64 s[20:21], s[16:17], s[20:21]
	s_mul_u64 s[20:21], s[20:21], 24
	s_wait_loadcnt 0x0
	v_add_nc_u64_e32 v[6:7], s[20:21], v[12:13]
	global_store_b64 v[6:7], v[16:17], off
	global_wb scope:SCOPE_SYS
	s_wait_storecnt 0x0
	s_wait_xcnt 0x0
	global_atomic_cmpswap_b64 v[14:15], v9, v[14:17], s[8:9] offset:24 th:TH_ATOMIC_RETURN scope:SCOPE_SYS
	s_wait_loadcnt 0x0
	v_cmp_ne_u64_e32 vcc_lo, v[14:15], v[16:17]
	s_and_b32 exec_lo, exec_lo, vcc_lo
	s_cbranch_execz .LBB2_35
; %bb.109:                              ;   in Loop: Header=BB2_36 Depth=1
	s_mov_b32 s3, 0
.LBB2_110:                              ;   Parent Loop BB2_36 Depth=1
                                        ; =>  This Inner Loop Header: Depth=2
	v_dual_mov_b32 v12, s16 :: v_dual_mov_b32 v13, s17
	s_sleep 1
	global_store_b64 v[6:7], v[14:15], off
	global_wb scope:SCOPE_SYS
	s_wait_storecnt 0x0
	s_wait_xcnt 0x0
	global_atomic_cmpswap_b64 v[12:13], v9, v[12:15], s[8:9] offset:24 th:TH_ATOMIC_RETURN scope:SCOPE_SYS
	s_wait_loadcnt 0x0
	v_cmp_eq_u64_e32 vcc_lo, v[12:13], v[14:15]
	v_mov_b64_e32 v[14:15], v[12:13]
	s_or_b32 s3, vcc_lo, s3
	s_delay_alu instid0(SALU_CYCLE_1)
	s_and_not1_b32 exec_lo, exec_lo, s3
	s_cbranch_execnz .LBB2_110
	s_branch .LBB2_35
.LBB2_111:
	s_branch .LBB2_140
.LBB2_112:
                                        ; implicit-def: $vgpr4_vgpr5
	s_cbranch_execz .LBB2_140
; %bb.113:
	v_readfirstlane_b32 s3, v29
	s_wait_loadcnt 0x0
	v_mov_b64_e32 v[4:5], 0
	s_delay_alu instid0(VALU_DEP_2)
	v_cmp_eq_u32_e64 s3, s3, v29
	s_and_saveexec_b32 s10, s3
	s_cbranch_execz .LBB2_119
; %bb.114:
	v_mov_b32_e32 v1, 0
	s_mov_b32 s11, exec_lo
	global_load_b64 v[6:7], v1, s[8:9] offset:24 scope:SCOPE_SYS
	s_wait_loadcnt 0x0
	global_inv scope:SCOPE_SYS
	s_clause 0x1
	global_load_b64 v[4:5], v1, s[8:9] offset:40
	global_load_b64 v[8:9], v1, s[8:9]
	s_wait_loadcnt 0x1
	v_and_b32_e32 v4, v4, v6
	v_and_b32_e32 v5, v5, v7
	s_delay_alu instid0(VALU_DEP_1) | instskip(SKIP_1) | instid1(VALU_DEP_1)
	v_mul_u64_e32 v[4:5], 24, v[4:5]
	s_wait_loadcnt 0x0
	v_add_nc_u64_e32 v[4:5], v[8:9], v[4:5]
	global_load_b64 v[4:5], v[4:5], off scope:SCOPE_SYS
	s_wait_xcnt 0x0
	s_wait_loadcnt 0x0
	global_atomic_cmpswap_b64 v[4:5], v1, v[4:7], s[8:9] offset:24 th:TH_ATOMIC_RETURN scope:SCOPE_SYS
	s_wait_loadcnt 0x0
	global_inv scope:SCOPE_SYS
	s_wait_xcnt 0x0
	v_cmpx_ne_u64_e64 v[4:5], v[6:7]
	s_cbranch_execz .LBB2_118
; %bb.115:
	s_mov_b32 s12, 0
.LBB2_116:                              ; =>This Inner Loop Header: Depth=1
	s_sleep 1
	s_clause 0x1
	global_load_b64 v[8:9], v1, s[8:9] offset:40
	global_load_b64 v[10:11], v1, s[8:9]
	v_mov_b64_e32 v[6:7], v[4:5]
	s_wait_loadcnt 0x1
	s_delay_alu instid0(VALU_DEP_1) | instskip(NEXT) | instid1(VALU_DEP_2)
	v_and_b32_e32 v4, v8, v6
	v_and_b32_e32 v8, v9, v7
	s_wait_loadcnt 0x0
	s_delay_alu instid0(VALU_DEP_2) | instskip(NEXT) | instid1(VALU_DEP_1)
	v_mad_nc_u64_u32 v[4:5], v4, 24, v[10:11]
	v_mad_u32 v5, v8, 24, v5
	global_load_b64 v[4:5], v[4:5], off scope:SCOPE_SYS
	s_wait_xcnt 0x0
	s_wait_loadcnt 0x0
	global_atomic_cmpswap_b64 v[4:5], v1, v[4:7], s[8:9] offset:24 th:TH_ATOMIC_RETURN scope:SCOPE_SYS
	s_wait_loadcnt 0x0
	global_inv scope:SCOPE_SYS
	v_cmp_eq_u64_e32 vcc_lo, v[4:5], v[6:7]
	s_or_b32 s12, vcc_lo, s12
	s_wait_xcnt 0x0
	s_and_not1_b32 exec_lo, exec_lo, s12
	s_cbranch_execnz .LBB2_116
; %bb.117:
	s_or_b32 exec_lo, exec_lo, s12
.LBB2_118:
	s_delay_alu instid0(SALU_CYCLE_1)
	s_or_b32 exec_lo, exec_lo, s11
.LBB2_119:
	s_delay_alu instid0(SALU_CYCLE_1)
	s_or_b32 exec_lo, exec_lo, s10
	v_readfirstlane_b32 s10, v4
	v_mov_b32_e32 v1, 0
	v_readfirstlane_b32 s11, v5
	s_mov_b32 s12, exec_lo
	s_clause 0x1
	global_load_b64 v[10:11], v1, s[8:9] offset:40
	global_load_b128 v[6:9], v1, s[8:9]
	s_wait_loadcnt 0x1
	v_and_b32_e32 v4, s10, v10
	v_and_b32_e32 v5, s11, v11
	s_delay_alu instid0(VALU_DEP_1) | instskip(SKIP_1) | instid1(VALU_DEP_1)
	v_mul_u64_e32 v[10:11], 24, v[4:5]
	s_wait_loadcnt 0x0
	v_add_nc_u64_e32 v[10:11], v[6:7], v[10:11]
	s_wait_xcnt 0x0
	s_and_saveexec_b32 s13, s3
	s_cbranch_execz .LBB2_121
; %bb.120:
	v_mov_b64_e32 v[14:15], 0x100000002
	v_dual_mov_b32 v12, s12 :: v_dual_mov_b32 v13, v1
	global_store_b128 v[10:11], v[12:15], off offset:8
.LBB2_121:
	s_wait_xcnt 0x0
	s_or_b32 exec_lo, exec_lo, s13
	v_lshlrev_b64_e32 v[4:5], 12, v[4:5]
	s_mov_b32 s12, 0
	v_and_or_b32 v2, 0xffffff1f, v2, 32
	s_mov_b32 s13, s12
	s_mov_b32 s14, s12
	;; [unrolled: 1-line block ×3, first 2 shown]
	v_mov_b64_e32 v[12:13], s[12:13]
	v_add_nc_u64_e32 v[8:9], v[8:9], v[4:5]
	v_mov_b64_e32 v[14:15], s[14:15]
	v_dual_mov_b32 v4, v1 :: v_dual_mov_b32 v5, v1
	s_delay_alu instid0(VALU_DEP_3) | instskip(NEXT) | instid1(VALU_DEP_4)
	v_readfirstlane_b32 s16, v8
	v_readfirstlane_b32 s17, v9
	s_clause 0x3
	global_store_b128 v0, v[2:5], s[16:17]
	global_store_b128 v0, v[12:15], s[16:17] offset:16
	global_store_b128 v0, v[12:15], s[16:17] offset:32
	;; [unrolled: 1-line block ×3, first 2 shown]
	s_wait_xcnt 0x0
	s_and_saveexec_b32 s12, s3
	s_cbranch_execz .LBB2_129
; %bb.122:
	v_dual_mov_b32 v12, 0 :: v_dual_mov_b32 v15, s11
	s_mov_b32 s13, exec_lo
	s_clause 0x1
	global_load_b64 v[16:17], v12, s[8:9] offset:32 scope:SCOPE_SYS
	global_load_b64 v[2:3], v12, s[8:9] offset:40
	s_wait_loadcnt 0x0
	v_dual_mov_b32 v14, s10 :: v_dual_bitop2_b32 v3, s11, v3 bitop3:0x40
	v_and_b32_e32 v2, s10, v2
	s_delay_alu instid0(VALU_DEP_1) | instskip(NEXT) | instid1(VALU_DEP_1)
	v_mul_u64_e32 v[2:3], 24, v[2:3]
	v_add_nc_u64_e32 v[6:7], v[6:7], v[2:3]
	global_store_b64 v[6:7], v[16:17], off
	global_wb scope:SCOPE_SYS
	s_wait_storecnt 0x0
	s_wait_xcnt 0x0
	global_atomic_cmpswap_b64 v[4:5], v12, v[14:17], s[8:9] offset:32 th:TH_ATOMIC_RETURN scope:SCOPE_SYS
	s_wait_loadcnt 0x0
	v_cmpx_ne_u64_e64 v[4:5], v[16:17]
	s_cbranch_execz .LBB2_125
; %bb.123:
	s_mov_b32 s14, 0
.LBB2_124:                              ; =>This Inner Loop Header: Depth=1
	v_dual_mov_b32 v2, s10 :: v_dual_mov_b32 v3, s11
	s_sleep 1
	global_store_b64 v[6:7], v[4:5], off
	global_wb scope:SCOPE_SYS
	s_wait_storecnt 0x0
	s_wait_xcnt 0x0
	global_atomic_cmpswap_b64 v[2:3], v12, v[2:5], s[8:9] offset:32 th:TH_ATOMIC_RETURN scope:SCOPE_SYS
	s_wait_loadcnt 0x0
	v_cmp_eq_u64_e32 vcc_lo, v[2:3], v[4:5]
	v_mov_b64_e32 v[4:5], v[2:3]
	s_or_b32 s14, vcc_lo, s14
	s_delay_alu instid0(SALU_CYCLE_1)
	s_and_not1_b32 exec_lo, exec_lo, s14
	s_cbranch_execnz .LBB2_124
.LBB2_125:
	s_or_b32 exec_lo, exec_lo, s13
	v_mov_b32_e32 v5, 0
	s_mov_b32 s14, exec_lo
	s_mov_b32 s13, exec_lo
	v_mbcnt_lo_u32_b32 v4, s14, 0
	global_load_b64 v[2:3], v5, s[8:9] offset:16
	s_wait_xcnt 0x0
	v_cmpx_eq_u32_e32 0, v4
	s_cbranch_execz .LBB2_127
; %bb.126:
	s_bcnt1_i32_b32 s14, s14
	s_delay_alu instid0(SALU_CYCLE_1)
	v_mov_b32_e32 v4, s14
	global_wb scope:SCOPE_SYS
	s_wait_loadcnt 0x0
	s_wait_storecnt 0x0
	global_atomic_add_u64 v[2:3], v[4:5], off offset:8 scope:SCOPE_SYS
.LBB2_127:
	s_wait_xcnt 0x0
	s_or_b32 exec_lo, exec_lo, s13
	s_wait_loadcnt 0x0
	global_load_b64 v[4:5], v[2:3], off offset:16
	s_wait_loadcnt 0x0
	v_cmp_eq_u64_e32 vcc_lo, 0, v[4:5]
	s_cbranch_vccnz .LBB2_129
; %bb.128:
	global_load_b32 v2, v[2:3], off offset:24
	s_wait_xcnt 0x0
	v_mov_b32_e32 v3, 0
	s_wait_loadcnt 0x0
	v_readfirstlane_b32 s13, v2
	global_wb scope:SCOPE_SYS
	s_wait_storecnt 0x0
	global_store_b64 v[4:5], v[2:3], off scope:SCOPE_SYS
	s_and_b32 m0, s13, 0xffffff
	s_sendmsg sendmsg(MSG_INTERRUPT)
.LBB2_129:
	s_wait_xcnt 0x0
	s_or_b32 exec_lo, exec_lo, s12
	v_add_nc_u64_e32 v[2:3], v[8:9], v[0:1]
	s_branch .LBB2_133
.LBB2_130:                              ;   in Loop: Header=BB2_133 Depth=1
	s_wait_xcnt 0x0
	s_or_b32 exec_lo, exec_lo, s12
	s_delay_alu instid0(VALU_DEP_1)
	v_readfirstlane_b32 s12, v1
	s_cmp_eq_u32 s12, 0
	s_cbranch_scc1 .LBB2_132
; %bb.131:                              ;   in Loop: Header=BB2_133 Depth=1
	s_sleep 1
	s_cbranch_execnz .LBB2_133
	s_branch .LBB2_135
.LBB2_132:
	s_branch .LBB2_135
.LBB2_133:                              ; =>This Inner Loop Header: Depth=1
	v_mov_b32_e32 v1, 1
	s_and_saveexec_b32 s12, s3
	s_cbranch_execz .LBB2_130
; %bb.134:                              ;   in Loop: Header=BB2_133 Depth=1
	global_load_b32 v1, v[10:11], off offset:20 scope:SCOPE_SYS
	s_wait_loadcnt 0x0
	global_inv scope:SCOPE_SYS
	v_and_b32_e32 v1, 1, v1
	s_branch .LBB2_130
.LBB2_135:
	global_load_b64 v[4:5], v[2:3], off
	s_wait_xcnt 0x0
	s_and_saveexec_b32 s12, s3
	s_cbranch_execz .LBB2_139
; %bb.136:
	v_mov_b32_e32 v1, 0
	s_clause 0x2
	global_load_b64 v[2:3], v1, s[8:9] offset:40
	global_load_b64 v[10:11], v1, s[8:9] offset:24 scope:SCOPE_SYS
	global_load_b64 v[6:7], v1, s[8:9]
	s_wait_loadcnt 0x2
	v_readfirstlane_b32 s14, v2
	v_readfirstlane_b32 s15, v3
	s_add_nc_u64 s[16:17], s[14:15], 1
	s_delay_alu instid0(SALU_CYCLE_1) | instskip(NEXT) | instid1(SALU_CYCLE_1)
	s_add_nc_u64 s[10:11], s[16:17], s[10:11]
	s_cmp_eq_u64 s[10:11], 0
	s_cselect_b32 s11, s17, s11
	s_cselect_b32 s10, s16, s10
	v_mov_b32_e32 v9, s11
	s_and_b64 s[14:15], s[10:11], s[14:15]
	v_mov_b32_e32 v8, s10
	s_mul_u64 s[14:15], s[14:15], 24
	s_wait_loadcnt 0x0
	v_add_nc_u64_e32 v[2:3], s[14:15], v[6:7]
	global_store_b64 v[2:3], v[10:11], off
	global_wb scope:SCOPE_SYS
	s_wait_storecnt 0x0
	s_wait_xcnt 0x0
	global_atomic_cmpswap_b64 v[8:9], v1, v[8:11], s[8:9] offset:24 th:TH_ATOMIC_RETURN scope:SCOPE_SYS
	s_wait_loadcnt 0x0
	v_cmp_ne_u64_e32 vcc_lo, v[8:9], v[10:11]
	s_and_b32 exec_lo, exec_lo, vcc_lo
	s_cbranch_execz .LBB2_139
; %bb.137:
	s_mov_b32 s3, 0
.LBB2_138:                              ; =>This Inner Loop Header: Depth=1
	v_dual_mov_b32 v6, s10 :: v_dual_mov_b32 v7, s11
	s_sleep 1
	global_store_b64 v[2:3], v[8:9], off
	global_wb scope:SCOPE_SYS
	s_wait_storecnt 0x0
	s_wait_xcnt 0x0
	global_atomic_cmpswap_b64 v[6:7], v1, v[6:9], s[8:9] offset:24 th:TH_ATOMIC_RETURN scope:SCOPE_SYS
	s_wait_loadcnt 0x0
	v_cmp_eq_u64_e32 vcc_lo, v[6:7], v[8:9]
	v_mov_b64_e32 v[8:9], v[6:7]
	s_or_b32 s3, vcc_lo, s3
	s_delay_alu instid0(SALU_CYCLE_1)
	s_and_not1_b32 exec_lo, exec_lo, s3
	s_cbranch_execnz .LBB2_138
.LBB2_139:
	s_or_b32 exec_lo, exec_lo, s12
.LBB2_140:
	v_readfirstlane_b32 s3, v29
	s_wait_loadcnt 0x0
	v_mov_b64_e32 v[2:3], 0
	s_delay_alu instid0(VALU_DEP_2)
	v_cmp_eq_u32_e64 s3, s3, v29
	s_and_saveexec_b32 s10, s3
	s_cbranch_execz .LBB2_146
; %bb.141:
	v_mov_b32_e32 v1, 0
	s_mov_b32 s11, exec_lo
	global_load_b64 v[8:9], v1, s[8:9] offset:24 scope:SCOPE_SYS
	s_wait_loadcnt 0x0
	global_inv scope:SCOPE_SYS
	s_clause 0x1
	global_load_b64 v[2:3], v1, s[8:9] offset:40
	global_load_b64 v[6:7], v1, s[8:9]
	s_wait_loadcnt 0x1
	v_and_b32_e32 v2, v2, v8
	v_and_b32_e32 v3, v3, v9
	s_delay_alu instid0(VALU_DEP_1) | instskip(SKIP_1) | instid1(VALU_DEP_1)
	v_mul_u64_e32 v[2:3], 24, v[2:3]
	s_wait_loadcnt 0x0
	v_add_nc_u64_e32 v[2:3], v[6:7], v[2:3]
	global_load_b64 v[6:7], v[2:3], off scope:SCOPE_SYS
	s_wait_xcnt 0x0
	s_wait_loadcnt 0x0
	global_atomic_cmpswap_b64 v[2:3], v1, v[6:9], s[8:9] offset:24 th:TH_ATOMIC_RETURN scope:SCOPE_SYS
	s_wait_loadcnt 0x0
	global_inv scope:SCOPE_SYS
	s_wait_xcnt 0x0
	v_cmpx_ne_u64_e64 v[2:3], v[8:9]
	s_cbranch_execz .LBB2_145
; %bb.142:
	s_mov_b32 s12, 0
.LBB2_143:                              ; =>This Inner Loop Header: Depth=1
	s_sleep 1
	s_clause 0x1
	global_load_b64 v[6:7], v1, s[8:9] offset:40
	global_load_b64 v[10:11], v1, s[8:9]
	v_mov_b64_e32 v[8:9], v[2:3]
	s_wait_loadcnt 0x1
	s_delay_alu instid0(VALU_DEP_1) | instskip(NEXT) | instid1(VALU_DEP_2)
	v_and_b32_e32 v2, v6, v8
	v_and_b32_e32 v6, v7, v9
	s_wait_loadcnt 0x0
	s_delay_alu instid0(VALU_DEP_2) | instskip(NEXT) | instid1(VALU_DEP_1)
	v_mad_nc_u64_u32 v[2:3], v2, 24, v[10:11]
	v_mad_u32 v3, v6, 24, v3
	global_load_b64 v[6:7], v[2:3], off scope:SCOPE_SYS
	s_wait_xcnt 0x0
	s_wait_loadcnt 0x0
	global_atomic_cmpswap_b64 v[2:3], v1, v[6:9], s[8:9] offset:24 th:TH_ATOMIC_RETURN scope:SCOPE_SYS
	s_wait_loadcnt 0x0
	global_inv scope:SCOPE_SYS
	v_cmp_eq_u64_e32 vcc_lo, v[2:3], v[8:9]
	s_or_b32 s12, vcc_lo, s12
	s_wait_xcnt 0x0
	s_and_not1_b32 exec_lo, exec_lo, s12
	s_cbranch_execnz .LBB2_143
; %bb.144:
	s_or_b32 exec_lo, exec_lo, s12
.LBB2_145:
	s_delay_alu instid0(SALU_CYCLE_1)
	s_or_b32 exec_lo, exec_lo, s11
.LBB2_146:
	s_delay_alu instid0(SALU_CYCLE_1)
	s_or_b32 exec_lo, exec_lo, s10
	v_readfirstlane_b32 s10, v2
	v_mov_b32_e32 v1, 0
	v_readfirstlane_b32 s11, v3
	s_mov_b32 s12, exec_lo
	s_clause 0x1
	global_load_b64 v[6:7], v1, s[8:9] offset:40
	global_load_b128 v[8:11], v1, s[8:9]
	s_wait_loadcnt 0x1
	v_and_b32_e32 v2, s10, v6
	v_and_b32_e32 v3, s11, v7
	s_delay_alu instid0(VALU_DEP_1) | instskip(SKIP_1) | instid1(VALU_DEP_1)
	v_mul_u64_e32 v[6:7], 24, v[2:3]
	s_wait_loadcnt 0x0
	v_add_nc_u64_e32 v[12:13], v[8:9], v[6:7]
	s_wait_xcnt 0x0
	s_and_saveexec_b32 s13, s3
	s_cbranch_execz .LBB2_148
; %bb.147:
	v_mov_b64_e32 v[16:17], 0x100000002
	v_dual_mov_b32 v14, s12 :: v_dual_mov_b32 v15, v1
	global_store_b128 v[12:13], v[14:17], off offset:8
.LBB2_148:
	s_wait_xcnt 0x0
	s_or_b32 exec_lo, exec_lo, s13
	v_lshlrev_b64_e32 v[2:3], 12, v[2:3]
	s_mov_b32 s16, 0
	s_add_co_i32 s12, s22, -1
	s_mov_b32 s17, s16
	s_mov_b32 s18, s16
	;; [unrolled: 1-line block ×3, first 2 shown]
	v_mov_b64_e32 v[14:15], s[16:17]
	v_add_nc_u64_e32 v[10:11], v[10:11], v[2:3]
	v_mov_b64_e32 v[16:17], s[18:19]
	v_and_or_b32 v4, 0xffffff1f, v4, 32
	v_dual_mov_b32 v7, v1 :: v_dual_mov_b32 v6, s12
	s_delay_alu instid0(VALU_DEP_4)
	v_readfirstlane_b32 s14, v10
	v_readfirstlane_b32 s15, v11
	s_clause 0x3
	global_store_b128 v0, v[4:7], s[14:15]
	global_store_b128 v0, v[14:17], s[14:15] offset:16
	global_store_b128 v0, v[14:17], s[14:15] offset:32
	;; [unrolled: 1-line block ×3, first 2 shown]
	s_wait_xcnt 0x0
	s_and_saveexec_b32 s13, s3
	s_cbranch_execz .LBB2_156
; %bb.149:
	v_dual_mov_b32 v14, 0 :: v_dual_mov_b32 v17, s11
	s_mov_b32 s14, exec_lo
	s_clause 0x1
	global_load_b64 v[18:19], v14, s[8:9] offset:32 scope:SCOPE_SYS
	global_load_b64 v[2:3], v14, s[8:9] offset:40
	s_wait_loadcnt 0x0
	v_dual_mov_b32 v16, s10 :: v_dual_bitop2_b32 v3, s11, v3 bitop3:0x40
	v_and_b32_e32 v2, s10, v2
	s_delay_alu instid0(VALU_DEP_1) | instskip(NEXT) | instid1(VALU_DEP_1)
	v_mul_u64_e32 v[2:3], 24, v[2:3]
	v_add_nc_u64_e32 v[6:7], v[8:9], v[2:3]
	global_store_b64 v[6:7], v[18:19], off
	global_wb scope:SCOPE_SYS
	s_wait_storecnt 0x0
	s_wait_xcnt 0x0
	global_atomic_cmpswap_b64 v[4:5], v14, v[16:19], s[8:9] offset:32 th:TH_ATOMIC_RETURN scope:SCOPE_SYS
	s_wait_loadcnt 0x0
	v_cmpx_ne_u64_e64 v[4:5], v[18:19]
	s_cbranch_execz .LBB2_152
; %bb.150:
	s_mov_b32 s15, 0
.LBB2_151:                              ; =>This Inner Loop Header: Depth=1
	v_dual_mov_b32 v2, s10 :: v_dual_mov_b32 v3, s11
	s_sleep 1
	global_store_b64 v[6:7], v[4:5], off
	global_wb scope:SCOPE_SYS
	s_wait_storecnt 0x0
	s_wait_xcnt 0x0
	global_atomic_cmpswap_b64 v[2:3], v14, v[2:5], s[8:9] offset:32 th:TH_ATOMIC_RETURN scope:SCOPE_SYS
	s_wait_loadcnt 0x0
	v_cmp_eq_u64_e32 vcc_lo, v[2:3], v[4:5]
	v_mov_b64_e32 v[4:5], v[2:3]
	s_or_b32 s15, vcc_lo, s15
	s_delay_alu instid0(SALU_CYCLE_1)
	s_and_not1_b32 exec_lo, exec_lo, s15
	s_cbranch_execnz .LBB2_151
.LBB2_152:
	s_or_b32 exec_lo, exec_lo, s14
	v_mov_b32_e32 v5, 0
	s_mov_b32 s15, exec_lo
	s_mov_b32 s14, exec_lo
	v_mbcnt_lo_u32_b32 v4, s15, 0
	global_load_b64 v[2:3], v5, s[8:9] offset:16
	s_wait_xcnt 0x0
	v_cmpx_eq_u32_e32 0, v4
	s_cbranch_execz .LBB2_154
; %bb.153:
	s_bcnt1_i32_b32 s15, s15
	s_delay_alu instid0(SALU_CYCLE_1)
	v_mov_b32_e32 v4, s15
	global_wb scope:SCOPE_SYS
	s_wait_loadcnt 0x0
	s_wait_storecnt 0x0
	global_atomic_add_u64 v[2:3], v[4:5], off offset:8 scope:SCOPE_SYS
.LBB2_154:
	s_wait_xcnt 0x0
	s_or_b32 exec_lo, exec_lo, s14
	s_wait_loadcnt 0x0
	global_load_b64 v[4:5], v[2:3], off offset:16
	s_wait_loadcnt 0x0
	v_cmp_eq_u64_e32 vcc_lo, 0, v[4:5]
	s_cbranch_vccnz .LBB2_156
; %bb.155:
	global_load_b32 v2, v[2:3], off offset:24
	s_wait_xcnt 0x0
	v_mov_b32_e32 v3, 0
	s_wait_loadcnt 0x0
	v_readfirstlane_b32 s14, v2
	global_wb scope:SCOPE_SYS
	s_wait_storecnt 0x0
	global_store_b64 v[4:5], v[2:3], off scope:SCOPE_SYS
	s_and_b32 m0, s14, 0xffffff
	s_sendmsg sendmsg(MSG_INTERRUPT)
.LBB2_156:
	s_wait_xcnt 0x0
	s_or_b32 exec_lo, exec_lo, s13
	v_add_nc_u64_e32 v[2:3], v[10:11], v[0:1]
	s_branch .LBB2_160
.LBB2_157:                              ;   in Loop: Header=BB2_160 Depth=1
	s_wait_xcnt 0x0
	s_or_b32 exec_lo, exec_lo, s13
	s_delay_alu instid0(VALU_DEP_1)
	v_readfirstlane_b32 s13, v1
	s_cmp_eq_u32 s13, 0
	s_cbranch_scc1 .LBB2_159
; %bb.158:                              ;   in Loop: Header=BB2_160 Depth=1
	s_sleep 1
	s_cbranch_execnz .LBB2_160
	s_branch .LBB2_162
.LBB2_159:
	s_branch .LBB2_162
.LBB2_160:                              ; =>This Inner Loop Header: Depth=1
	v_mov_b32_e32 v1, 1
	s_and_saveexec_b32 s13, s3
	s_cbranch_execz .LBB2_157
; %bb.161:                              ;   in Loop: Header=BB2_160 Depth=1
	global_load_b32 v1, v[12:13], off offset:20 scope:SCOPE_SYS
	s_wait_loadcnt 0x0
	global_inv scope:SCOPE_SYS
	v_and_b32_e32 v1, 1, v1
	s_branch .LBB2_157
.LBB2_162:
	global_load_b64 v[2:3], v[2:3], off
	s_wait_xcnt 0x0
	s_and_saveexec_b32 s13, s3
	s_cbranch_execz .LBB2_166
; %bb.163:
	v_mov_b32_e32 v1, 0
	s_clause 0x2
	global_load_b64 v[4:5], v1, s[8:9] offset:40
	global_load_b64 v[12:13], v1, s[8:9] offset:24 scope:SCOPE_SYS
	global_load_b64 v[6:7], v1, s[8:9]
	s_wait_loadcnt 0x2
	v_readfirstlane_b32 s14, v4
	v_readfirstlane_b32 s15, v5
	s_add_nc_u64 s[16:17], s[14:15], 1
	s_delay_alu instid0(SALU_CYCLE_1) | instskip(NEXT) | instid1(SALU_CYCLE_1)
	s_add_nc_u64 s[10:11], s[16:17], s[10:11]
	s_cmp_eq_u64 s[10:11], 0
	s_cselect_b32 s11, s17, s11
	s_cselect_b32 s10, s16, s10
	v_mov_b32_e32 v11, s11
	s_and_b64 s[14:15], s[10:11], s[14:15]
	v_mov_b32_e32 v10, s10
	s_mul_u64 s[14:15], s[14:15], 24
	s_wait_loadcnt 0x0
	v_add_nc_u64_e32 v[8:9], s[14:15], v[6:7]
	global_store_b64 v[8:9], v[12:13], off
	global_wb scope:SCOPE_SYS
	s_wait_storecnt 0x0
	s_wait_xcnt 0x0
	global_atomic_cmpswap_b64 v[6:7], v1, v[10:13], s[8:9] offset:24 th:TH_ATOMIC_RETURN scope:SCOPE_SYS
	s_wait_loadcnt 0x0
	v_cmp_ne_u64_e32 vcc_lo, v[6:7], v[12:13]
	s_and_b32 exec_lo, exec_lo, vcc_lo
	s_cbranch_execz .LBB2_166
; %bb.164:
	s_mov_b32 s3, 0
.LBB2_165:                              ; =>This Inner Loop Header: Depth=1
	v_dual_mov_b32 v4, s10 :: v_dual_mov_b32 v5, s11
	s_sleep 1
	global_store_b64 v[8:9], v[6:7], off
	global_wb scope:SCOPE_SYS
	s_wait_storecnt 0x0
	s_wait_xcnt 0x0
	global_atomic_cmpswap_b64 v[4:5], v1, v[4:7], s[8:9] offset:24 th:TH_ATOMIC_RETURN scope:SCOPE_SYS
	s_wait_loadcnt 0x0
	v_cmp_eq_u64_e32 vcc_lo, v[4:5], v[6:7]
	v_mov_b64_e32 v[6:7], v[4:5]
	s_or_b32 s3, vcc_lo, s3
	s_delay_alu instid0(SALU_CYCLE_1)
	s_and_not1_b32 exec_lo, exec_lo, s3
	s_cbranch_execnz .LBB2_165
.LBB2_166:
	s_or_b32 exec_lo, exec_lo, s13
	v_readfirstlane_b32 s3, v29
	v_mov_b64_e32 v[4:5], 0
	s_delay_alu instid0(VALU_DEP_2)
	v_cmp_eq_u32_e64 s3, s3, v29
	s_and_saveexec_b32 s10, s3
	s_cbranch_execz .LBB2_172
; %bb.167:
	v_mov_b32_e32 v1, 0
	s_mov_b32 s11, exec_lo
	global_load_b64 v[6:7], v1, s[8:9] offset:24 scope:SCOPE_SYS
	s_wait_loadcnt 0x0
	global_inv scope:SCOPE_SYS
	s_clause 0x1
	global_load_b64 v[4:5], v1, s[8:9] offset:40
	global_load_b64 v[8:9], v1, s[8:9]
	s_wait_loadcnt 0x1
	v_and_b32_e32 v4, v4, v6
	v_and_b32_e32 v5, v5, v7
	s_delay_alu instid0(VALU_DEP_1) | instskip(SKIP_1) | instid1(VALU_DEP_1)
	v_mul_u64_e32 v[4:5], 24, v[4:5]
	s_wait_loadcnt 0x0
	v_add_nc_u64_e32 v[4:5], v[8:9], v[4:5]
	global_load_b64 v[4:5], v[4:5], off scope:SCOPE_SYS
	s_wait_xcnt 0x0
	s_wait_loadcnt 0x0
	global_atomic_cmpswap_b64 v[4:5], v1, v[4:7], s[8:9] offset:24 th:TH_ATOMIC_RETURN scope:SCOPE_SYS
	s_wait_loadcnt 0x0
	global_inv scope:SCOPE_SYS
	s_wait_xcnt 0x0
	v_cmpx_ne_u64_e64 v[4:5], v[6:7]
	s_cbranch_execz .LBB2_171
; %bb.168:
	s_mov_b32 s13, 0
.LBB2_169:                              ; =>This Inner Loop Header: Depth=1
	s_sleep 1
	s_clause 0x1
	global_load_b64 v[8:9], v1, s[8:9] offset:40
	global_load_b64 v[10:11], v1, s[8:9]
	v_mov_b64_e32 v[6:7], v[4:5]
	s_wait_loadcnt 0x1
	s_delay_alu instid0(VALU_DEP_1) | instskip(NEXT) | instid1(VALU_DEP_2)
	v_and_b32_e32 v4, v8, v6
	v_and_b32_e32 v8, v9, v7
	s_wait_loadcnt 0x0
	s_delay_alu instid0(VALU_DEP_2) | instskip(NEXT) | instid1(VALU_DEP_1)
	v_mad_nc_u64_u32 v[4:5], v4, 24, v[10:11]
	v_mad_u32 v5, v8, 24, v5
	global_load_b64 v[4:5], v[4:5], off scope:SCOPE_SYS
	s_wait_xcnt 0x0
	s_wait_loadcnt 0x0
	global_atomic_cmpswap_b64 v[4:5], v1, v[4:7], s[8:9] offset:24 th:TH_ATOMIC_RETURN scope:SCOPE_SYS
	s_wait_loadcnt 0x0
	global_inv scope:SCOPE_SYS
	v_cmp_eq_u64_e32 vcc_lo, v[4:5], v[6:7]
	s_or_b32 s13, vcc_lo, s13
	s_wait_xcnt 0x0
	s_and_not1_b32 exec_lo, exec_lo, s13
	s_cbranch_execnz .LBB2_169
; %bb.170:
	s_or_b32 exec_lo, exec_lo, s13
.LBB2_171:
	s_delay_alu instid0(SALU_CYCLE_1)
	s_or_b32 exec_lo, exec_lo, s11
.LBB2_172:
	s_delay_alu instid0(SALU_CYCLE_1)
	s_or_b32 exec_lo, exec_lo, s10
	v_readfirstlane_b32 s10, v4
	v_mov_b32_e32 v1, 0
	v_readfirstlane_b32 s11, v5
	s_mov_b32 s13, exec_lo
	s_clause 0x1
	global_load_b64 v[10:11], v1, s[8:9] offset:40
	global_load_b128 v[6:9], v1, s[8:9]
	s_wait_loadcnt 0x1
	v_and_b32_e32 v4, s10, v10
	v_and_b32_e32 v5, s11, v11
	s_delay_alu instid0(VALU_DEP_1) | instskip(SKIP_1) | instid1(VALU_DEP_1)
	v_mul_u64_e32 v[10:11], 24, v[4:5]
	s_wait_loadcnt 0x0
	v_add_nc_u64_e32 v[10:11], v[6:7], v[10:11]
	s_wait_xcnt 0x0
	s_and_saveexec_b32 s14, s3
	s_cbranch_execz .LBB2_174
; %bb.173:
	v_mov_b64_e32 v[14:15], 0x100000002
	v_dual_mov_b32 v12, s13 :: v_dual_mov_b32 v13, v1
	global_store_b128 v[10:11], v[12:15], off offset:8
.LBB2_174:
	s_wait_xcnt 0x0
	s_or_b32 exec_lo, exec_lo, s14
	v_lshlrev_b64_e32 v[12:13], 12, v[4:5]
	s_mov_b32 s16, 0
	v_dual_cndmask_b32 v4, -1, v33, s2 :: v_dual_mov_b32 v5, v1
	s_mov_b32 s17, s16
	s_mov_b32 s18, s16
	;; [unrolled: 1-line block ×3, first 2 shown]
	s_delay_alu instid0(VALU_DEP_2) | instskip(SKIP_3) | instid1(VALU_DEP_4)
	v_add_nc_u64_e32 v[8:9], v[8:9], v[12:13]
	v_mov_b64_e32 v[12:13], s[16:17]
	v_mov_b64_e32 v[14:15], s[18:19]
	v_and_or_b32 v2, 0xffffff1f, v2, 32
	v_readfirstlane_b32 s14, v8
	v_readfirstlane_b32 s15, v9
	s_clause 0x3
	global_store_b128 v0, v[2:5], s[14:15]
	global_store_b128 v0, v[12:15], s[14:15] offset:16
	global_store_b128 v0, v[12:15], s[14:15] offset:32
	;; [unrolled: 1-line block ×3, first 2 shown]
	s_wait_xcnt 0x0
	s_and_saveexec_b32 s2, s3
	s_cbranch_execz .LBB2_182
; %bb.175:
	v_dual_mov_b32 v12, 0 :: v_dual_mov_b32 v15, s11
	s_mov_b32 s13, exec_lo
	s_clause 0x1
	global_load_b64 v[16:17], v12, s[8:9] offset:32 scope:SCOPE_SYS
	global_load_b64 v[2:3], v12, s[8:9] offset:40
	s_wait_loadcnt 0x0
	v_dual_mov_b32 v14, s10 :: v_dual_bitop2_b32 v3, s11, v3 bitop3:0x40
	v_and_b32_e32 v2, s10, v2
	s_delay_alu instid0(VALU_DEP_1) | instskip(NEXT) | instid1(VALU_DEP_1)
	v_mul_u64_e32 v[2:3], 24, v[2:3]
	v_add_nc_u64_e32 v[6:7], v[6:7], v[2:3]
	global_store_b64 v[6:7], v[16:17], off
	global_wb scope:SCOPE_SYS
	s_wait_storecnt 0x0
	s_wait_xcnt 0x0
	global_atomic_cmpswap_b64 v[4:5], v12, v[14:17], s[8:9] offset:32 th:TH_ATOMIC_RETURN scope:SCOPE_SYS
	s_wait_loadcnt 0x0
	v_cmpx_ne_u64_e64 v[4:5], v[16:17]
	s_cbranch_execz .LBB2_178
; %bb.176:
	s_mov_b32 s14, 0
.LBB2_177:                              ; =>This Inner Loop Header: Depth=1
	v_dual_mov_b32 v2, s10 :: v_dual_mov_b32 v3, s11
	s_sleep 1
	global_store_b64 v[6:7], v[4:5], off
	global_wb scope:SCOPE_SYS
	s_wait_storecnt 0x0
	s_wait_xcnt 0x0
	global_atomic_cmpswap_b64 v[2:3], v12, v[2:5], s[8:9] offset:32 th:TH_ATOMIC_RETURN scope:SCOPE_SYS
	s_wait_loadcnt 0x0
	v_cmp_eq_u64_e32 vcc_lo, v[2:3], v[4:5]
	v_mov_b64_e32 v[4:5], v[2:3]
	s_or_b32 s14, vcc_lo, s14
	s_delay_alu instid0(SALU_CYCLE_1)
	s_and_not1_b32 exec_lo, exec_lo, s14
	s_cbranch_execnz .LBB2_177
.LBB2_178:
	s_or_b32 exec_lo, exec_lo, s13
	v_mov_b32_e32 v5, 0
	s_mov_b32 s14, exec_lo
	s_mov_b32 s13, exec_lo
	v_mbcnt_lo_u32_b32 v4, s14, 0
	global_load_b64 v[2:3], v5, s[8:9] offset:16
	s_wait_xcnt 0x0
	v_cmpx_eq_u32_e32 0, v4
	s_cbranch_execz .LBB2_180
; %bb.179:
	s_bcnt1_i32_b32 s14, s14
	s_delay_alu instid0(SALU_CYCLE_1)
	v_mov_b32_e32 v4, s14
	global_wb scope:SCOPE_SYS
	s_wait_loadcnt 0x0
	s_wait_storecnt 0x0
	global_atomic_add_u64 v[2:3], v[4:5], off offset:8 scope:SCOPE_SYS
.LBB2_180:
	s_wait_xcnt 0x0
	s_or_b32 exec_lo, exec_lo, s13
	s_wait_loadcnt 0x0
	global_load_b64 v[4:5], v[2:3], off offset:16
	s_wait_loadcnt 0x0
	v_cmp_eq_u64_e32 vcc_lo, 0, v[4:5]
	s_cbranch_vccnz .LBB2_182
; %bb.181:
	global_load_b32 v2, v[2:3], off offset:24
	s_wait_xcnt 0x0
	v_mov_b32_e32 v3, 0
	s_wait_loadcnt 0x0
	v_readfirstlane_b32 s13, v2
	global_wb scope:SCOPE_SYS
	s_wait_storecnt 0x0
	global_store_b64 v[4:5], v[2:3], off scope:SCOPE_SYS
	s_and_b32 m0, s13, 0xffffff
	s_sendmsg sendmsg(MSG_INTERRUPT)
.LBB2_182:
	s_wait_xcnt 0x0
	s_or_b32 exec_lo, exec_lo, s2
	v_add_nc_u64_e32 v[2:3], v[8:9], v[0:1]
	s_branch .LBB2_186
.LBB2_183:                              ;   in Loop: Header=BB2_186 Depth=1
	s_wait_xcnt 0x0
	s_or_b32 exec_lo, exec_lo, s2
	s_delay_alu instid0(VALU_DEP_1)
	v_readfirstlane_b32 s2, v1
	s_cmp_eq_u32 s2, 0
	s_cbranch_scc1 .LBB2_185
; %bb.184:                              ;   in Loop: Header=BB2_186 Depth=1
	s_sleep 1
	s_cbranch_execnz .LBB2_186
	s_branch .LBB2_188
.LBB2_185:
	s_branch .LBB2_188
.LBB2_186:                              ; =>This Inner Loop Header: Depth=1
	v_mov_b32_e32 v1, 1
	s_and_saveexec_b32 s2, s3
	s_cbranch_execz .LBB2_183
; %bb.187:                              ;   in Loop: Header=BB2_186 Depth=1
	global_load_b32 v1, v[10:11], off offset:20 scope:SCOPE_SYS
	s_wait_loadcnt 0x0
	global_inv scope:SCOPE_SYS
	v_and_b32_e32 v1, 1, v1
	s_branch .LBB2_183
.LBB2_188:
	global_load_b64 v[2:3], v[2:3], off
	s_wait_xcnt 0x0
	s_and_saveexec_b32 s13, s3
	s_cbranch_execz .LBB2_192
; %bb.189:
	v_mov_b32_e32 v1, 0
	s_clause 0x2
	global_load_b64 v[4:5], v1, s[8:9] offset:40
	global_load_b64 v[12:13], v1, s[8:9] offset:24 scope:SCOPE_SYS
	global_load_b64 v[6:7], v1, s[8:9]
	s_wait_loadcnt 0x2
	v_readfirstlane_b32 s14, v4
	v_readfirstlane_b32 s15, v5
	s_add_nc_u64 s[2:3], s[14:15], 1
	s_delay_alu instid0(SALU_CYCLE_1) | instskip(NEXT) | instid1(SALU_CYCLE_1)
	s_add_nc_u64 s[10:11], s[2:3], s[10:11]
	s_cmp_eq_u64 s[10:11], 0
	s_cselect_b32 s3, s3, s11
	s_cselect_b32 s2, s2, s10
	v_mov_b32_e32 v11, s3
	s_and_b64 s[10:11], s[2:3], s[14:15]
	v_mov_b32_e32 v10, s2
	s_mul_u64 s[10:11], s[10:11], 24
	s_wait_loadcnt 0x0
	v_add_nc_u64_e32 v[8:9], s[10:11], v[6:7]
	global_store_b64 v[8:9], v[12:13], off
	global_wb scope:SCOPE_SYS
	s_wait_storecnt 0x0
	s_wait_xcnt 0x0
	global_atomic_cmpswap_b64 v[6:7], v1, v[10:13], s[8:9] offset:24 th:TH_ATOMIC_RETURN scope:SCOPE_SYS
	s_wait_loadcnt 0x0
	v_cmp_ne_u64_e32 vcc_lo, v[6:7], v[12:13]
	s_and_b32 exec_lo, exec_lo, vcc_lo
	s_cbranch_execz .LBB2_192
; %bb.190:
	s_mov_b32 s10, 0
.LBB2_191:                              ; =>This Inner Loop Header: Depth=1
	v_dual_mov_b32 v4, s2 :: v_dual_mov_b32 v5, s3
	s_sleep 1
	global_store_b64 v[8:9], v[6:7], off
	global_wb scope:SCOPE_SYS
	s_wait_storecnt 0x0
	s_wait_xcnt 0x0
	global_atomic_cmpswap_b64 v[4:5], v1, v[4:7], s[8:9] offset:24 th:TH_ATOMIC_RETURN scope:SCOPE_SYS
	s_wait_loadcnt 0x0
	v_cmp_eq_u64_e32 vcc_lo, v[4:5], v[6:7]
	v_mov_b64_e32 v[6:7], v[4:5]
	s_or_b32 s10, vcc_lo, s10
	s_delay_alu instid0(SALU_CYCLE_1)
	s_and_not1_b32 exec_lo, exec_lo, s10
	s_cbranch_execnz .LBB2_191
.LBB2_192:
	s_or_b32 exec_lo, exec_lo, s13
	v_readfirstlane_b32 s2, v29
	v_mov_b64_e32 v[10:11], 0
	s_delay_alu instid0(VALU_DEP_2)
	v_cmp_eq_u32_e64 s2, s2, v29
	s_and_saveexec_b32 s3, s2
	s_cbranch_execz .LBB2_198
; %bb.193:
	v_mov_b32_e32 v1, 0
	s_mov_b32 s10, exec_lo
	global_load_b64 v[6:7], v1, s[8:9] offset:24 scope:SCOPE_SYS
	s_wait_loadcnt 0x0
	global_inv scope:SCOPE_SYS
	s_clause 0x1
	global_load_b64 v[4:5], v1, s[8:9] offset:40
	global_load_b64 v[8:9], v1, s[8:9]
	s_wait_loadcnt 0x1
	v_and_b32_e32 v4, v4, v6
	v_and_b32_e32 v5, v5, v7
	s_delay_alu instid0(VALU_DEP_1) | instskip(SKIP_1) | instid1(VALU_DEP_1)
	v_mul_u64_e32 v[4:5], 24, v[4:5]
	s_wait_loadcnt 0x0
	v_add_nc_u64_e32 v[4:5], v[8:9], v[4:5]
	global_load_b64 v[4:5], v[4:5], off scope:SCOPE_SYS
	s_wait_xcnt 0x0
	s_wait_loadcnt 0x0
	global_atomic_cmpswap_b64 v[10:11], v1, v[4:7], s[8:9] offset:24 th:TH_ATOMIC_RETURN scope:SCOPE_SYS
	s_wait_loadcnt 0x0
	global_inv scope:SCOPE_SYS
	s_wait_xcnt 0x0
	v_cmpx_ne_u64_e64 v[10:11], v[6:7]
	s_cbranch_execz .LBB2_197
; %bb.194:
	s_mov_b32 s11, 0
.LBB2_195:                              ; =>This Inner Loop Header: Depth=1
	s_sleep 1
	s_clause 0x1
	global_load_b64 v[4:5], v1, s[8:9] offset:40
	global_load_b64 v[8:9], v1, s[8:9]
	v_mov_b64_e32 v[6:7], v[10:11]
	s_wait_loadcnt 0x1
	s_delay_alu instid0(VALU_DEP_1) | instskip(SKIP_1) | instid1(VALU_DEP_1)
	v_and_b32_e32 v4, v4, v6
	s_wait_loadcnt 0x0
	v_mad_nc_u64_u32 v[8:9], v4, 24, v[8:9]
	s_delay_alu instid0(VALU_DEP_3) | instskip(NEXT) | instid1(VALU_DEP_1)
	v_and_b32_e32 v4, v5, v7
	v_mad_u32 v9, v4, 24, v9
	global_load_b64 v[4:5], v[8:9], off scope:SCOPE_SYS
	s_wait_xcnt 0x0
	s_wait_loadcnt 0x0
	global_atomic_cmpswap_b64 v[10:11], v1, v[4:7], s[8:9] offset:24 th:TH_ATOMIC_RETURN scope:SCOPE_SYS
	s_wait_loadcnt 0x0
	global_inv scope:SCOPE_SYS
	v_cmp_eq_u64_e32 vcc_lo, v[10:11], v[6:7]
	s_or_b32 s11, vcc_lo, s11
	s_wait_xcnt 0x0
	s_and_not1_b32 exec_lo, exec_lo, s11
	s_cbranch_execnz .LBB2_195
; %bb.196:
	s_or_b32 exec_lo, exec_lo, s11
.LBB2_197:
	s_delay_alu instid0(SALU_CYCLE_1)
	s_or_b32 exec_lo, exec_lo, s10
.LBB2_198:
	s_delay_alu instid0(SALU_CYCLE_1)
	s_or_b32 exec_lo, exec_lo, s3
	v_readfirstlane_b32 s10, v10
	v_mov_b32_e32 v5, 0
	v_readfirstlane_b32 s11, v11
	s_mov_b32 s3, exec_lo
	s_clause 0x1
	global_load_b64 v[12:13], v5, s[8:9] offset:40
	global_load_b128 v[6:9], v5, s[8:9]
	s_wait_loadcnt 0x1
	v_and_b32_e32 v12, s10, v12
	v_and_b32_e32 v13, s11, v13
	s_delay_alu instid0(VALU_DEP_1) | instskip(SKIP_1) | instid1(VALU_DEP_1)
	v_mul_u64_e32 v[10:11], 24, v[12:13]
	s_wait_loadcnt 0x0
	v_add_nc_u64_e32 v[10:11], v[6:7], v[10:11]
	s_wait_xcnt 0x0
	s_and_saveexec_b32 s13, s2
	s_cbranch_execz .LBB2_200
; %bb.199:
	v_mov_b32_e32 v4, s3
	v_mov_b64_e32 v[16:17], 0x100000002
	s_delay_alu instid0(VALU_DEP_2)
	v_mov_b64_e32 v[14:15], v[4:5]
	global_store_b128 v[10:11], v[14:17], off offset:8
.LBB2_200:
	s_wait_xcnt 0x0
	s_or_b32 exec_lo, exec_lo, s13
	v_lshlrev_b64_e32 v[12:13], 12, v[12:13]
	s_mul_i32 s3, s12, s22
	s_mov_b32 s12, 0
	s_lshr_b32 s3, s3, 1
	s_mov_b32 s13, s12
	s_mov_b32 s14, s12
	;; [unrolled: 1-line block ×3, first 2 shown]
	v_add_nc_u64_e32 v[8:9], v[8:9], v[12:13]
	v_mov_b64_e32 v[12:13], s[12:13]
	v_mov_b64_e32 v[14:15], s[14:15]
	v_and_or_b32 v2, 0xffffff1d, v2, 34
	v_mov_b32_e32 v4, s3
	v_readfirstlane_b32 s16, v8
	v_readfirstlane_b32 s17, v9
	s_clause 0x3
	global_store_b128 v0, v[2:5], s[16:17]
	global_store_b128 v0, v[12:15], s[16:17] offset:16
	global_store_b128 v0, v[12:15], s[16:17] offset:32
	;; [unrolled: 1-line block ×3, first 2 shown]
	s_wait_xcnt 0x0
	s_and_saveexec_b32 s3, s2
	s_cbranch_execz .LBB2_208
; %bb.201:
	v_dual_mov_b32 v1, 0 :: v_dual_mov_b32 v13, s11
	s_mov_b32 s12, exec_lo
	s_clause 0x1
	global_load_b64 v[14:15], v1, s[8:9] offset:32 scope:SCOPE_SYS
	global_load_b64 v[2:3], v1, s[8:9] offset:40
	s_wait_loadcnt 0x0
	v_dual_mov_b32 v12, s10 :: v_dual_bitop2_b32 v3, s11, v3 bitop3:0x40
	v_and_b32_e32 v2, s10, v2
	s_delay_alu instid0(VALU_DEP_1) | instskip(NEXT) | instid1(VALU_DEP_1)
	v_mul_u64_e32 v[2:3], 24, v[2:3]
	v_add_nc_u64_e32 v[6:7], v[6:7], v[2:3]
	global_store_b64 v[6:7], v[14:15], off
	global_wb scope:SCOPE_SYS
	s_wait_storecnt 0x0
	s_wait_xcnt 0x0
	global_atomic_cmpswap_b64 v[4:5], v1, v[12:15], s[8:9] offset:32 th:TH_ATOMIC_RETURN scope:SCOPE_SYS
	s_wait_loadcnt 0x0
	v_cmpx_ne_u64_e64 v[4:5], v[14:15]
	s_cbranch_execz .LBB2_204
; %bb.202:
	s_mov_b32 s13, 0
.LBB2_203:                              ; =>This Inner Loop Header: Depth=1
	v_dual_mov_b32 v2, s10 :: v_dual_mov_b32 v3, s11
	s_sleep 1
	global_store_b64 v[6:7], v[4:5], off
	global_wb scope:SCOPE_SYS
	s_wait_storecnt 0x0
	s_wait_xcnt 0x0
	global_atomic_cmpswap_b64 v[2:3], v1, v[2:5], s[8:9] offset:32 th:TH_ATOMIC_RETURN scope:SCOPE_SYS
	s_wait_loadcnt 0x0
	v_cmp_eq_u64_e32 vcc_lo, v[2:3], v[4:5]
	v_mov_b64_e32 v[4:5], v[2:3]
	s_or_b32 s13, vcc_lo, s13
	s_delay_alu instid0(SALU_CYCLE_1)
	s_and_not1_b32 exec_lo, exec_lo, s13
	s_cbranch_execnz .LBB2_203
.LBB2_204:
	s_or_b32 exec_lo, exec_lo, s12
	v_mov_b32_e32 v5, 0
	s_mov_b32 s13, exec_lo
	s_mov_b32 s12, exec_lo
	v_mbcnt_lo_u32_b32 v1, s13, 0
	global_load_b64 v[2:3], v5, s[8:9] offset:16
	s_wait_xcnt 0x0
	v_cmpx_eq_u32_e32 0, v1
	s_cbranch_execz .LBB2_206
; %bb.205:
	s_bcnt1_i32_b32 s13, s13
	s_delay_alu instid0(SALU_CYCLE_1)
	v_mov_b32_e32 v4, s13
	global_wb scope:SCOPE_SYS
	s_wait_loadcnt 0x0
	s_wait_storecnt 0x0
	global_atomic_add_u64 v[2:3], v[4:5], off offset:8 scope:SCOPE_SYS
.LBB2_206:
	s_wait_xcnt 0x0
	s_or_b32 exec_lo, exec_lo, s12
	s_wait_loadcnt 0x0
	global_load_b64 v[4:5], v[2:3], off offset:16
	s_wait_loadcnt 0x0
	v_cmp_eq_u64_e32 vcc_lo, 0, v[4:5]
	s_cbranch_vccnz .LBB2_208
; %bb.207:
	global_load_b32 v2, v[2:3], off offset:24
	s_wait_xcnt 0x0
	v_mov_b32_e32 v3, 0
	s_wait_loadcnt 0x0
	v_readfirstlane_b32 s12, v2
	global_wb scope:SCOPE_SYS
	s_wait_storecnt 0x0
	global_store_b64 v[4:5], v[2:3], off scope:SCOPE_SYS
	s_and_b32 m0, s12, 0xffffff
	s_sendmsg sendmsg(MSG_INTERRUPT)
.LBB2_208:
	s_wait_xcnt 0x0
	s_or_b32 exec_lo, exec_lo, s3
	s_branch .LBB2_212
.LBB2_209:                              ;   in Loop: Header=BB2_212 Depth=1
	s_wait_xcnt 0x0
	s_or_b32 exec_lo, exec_lo, s3
	s_delay_alu instid0(VALU_DEP_1)
	v_readfirstlane_b32 s3, v1
	s_cmp_eq_u32 s3, 0
	s_cbranch_scc1 .LBB2_211
; %bb.210:                              ;   in Loop: Header=BB2_212 Depth=1
	s_sleep 1
	s_cbranch_execnz .LBB2_212
	s_branch .LBB2_214
.LBB2_211:
	s_branch .LBB2_214
.LBB2_212:                              ; =>This Inner Loop Header: Depth=1
	v_mov_b32_e32 v1, 1
	s_and_saveexec_b32 s3, s2
	s_cbranch_execz .LBB2_209
; %bb.213:                              ;   in Loop: Header=BB2_212 Depth=1
	global_load_b32 v1, v[10:11], off offset:20 scope:SCOPE_SYS
	s_wait_loadcnt 0x0
	global_inv scope:SCOPE_SYS
	v_and_b32_e32 v1, 1, v1
	s_branch .LBB2_209
.LBB2_214:
	s_and_saveexec_b32 s12, s2
	s_cbranch_execz .LBB2_218
; %bb.215:
	v_mov_b32_e32 v1, 0
	s_clause 0x2
	global_load_b64 v[2:3], v1, s[8:9] offset:40
	global_load_b64 v[10:11], v1, s[8:9] offset:24 scope:SCOPE_SYS
	global_load_b64 v[4:5], v1, s[8:9]
	s_wait_loadcnt 0x2
	v_readfirstlane_b32 s14, v2
	v_readfirstlane_b32 s15, v3
	s_add_nc_u64 s[2:3], s[14:15], 1
	s_delay_alu instid0(SALU_CYCLE_1) | instskip(NEXT) | instid1(SALU_CYCLE_1)
	s_add_nc_u64 s[10:11], s[2:3], s[10:11]
	s_cmp_eq_u64 s[10:11], 0
	s_cselect_b32 s3, s3, s11
	s_cselect_b32 s2, s2, s10
	v_mov_b32_e32 v9, s3
	s_and_b64 s[10:11], s[2:3], s[14:15]
	v_mov_b32_e32 v8, s2
	s_mul_u64 s[10:11], s[10:11], 24
	s_wait_loadcnt 0x0
	v_add_nc_u64_e32 v[6:7], s[10:11], v[4:5]
	global_store_b64 v[6:7], v[10:11], off
	global_wb scope:SCOPE_SYS
	s_wait_storecnt 0x0
	s_wait_xcnt 0x0
	global_atomic_cmpswap_b64 v[4:5], v1, v[8:11], s[8:9] offset:24 th:TH_ATOMIC_RETURN scope:SCOPE_SYS
	s_wait_loadcnt 0x0
	v_cmp_ne_u64_e32 vcc_lo, v[4:5], v[10:11]
	s_and_b32 exec_lo, exec_lo, vcc_lo
	s_cbranch_execz .LBB2_218
; %bb.216:
	s_mov_b32 s10, 0
.LBB2_217:                              ; =>This Inner Loop Header: Depth=1
	v_dual_mov_b32 v2, s2 :: v_dual_mov_b32 v3, s3
	s_sleep 1
	global_store_b64 v[6:7], v[4:5], off
	global_wb scope:SCOPE_SYS
	s_wait_storecnt 0x0
	s_wait_xcnt 0x0
	global_atomic_cmpswap_b64 v[2:3], v1, v[2:5], s[8:9] offset:24 th:TH_ATOMIC_RETURN scope:SCOPE_SYS
	s_wait_loadcnt 0x0
	v_cmp_eq_u64_e32 vcc_lo, v[2:3], v[4:5]
	v_mov_b64_e32 v[4:5], v[2:3]
	s_or_b32 s10, vcc_lo, s10
	s_delay_alu instid0(SALU_CYCLE_1)
	s_and_not1_b32 exec_lo, exec_lo, s10
	s_cbranch_execnz .LBB2_217
.LBB2_218:
	s_or_b32 exec_lo, exec_lo, s12
	v_readfirstlane_b32 s2, v29
	v_mov_b64_e32 v[6:7], 0
	s_delay_alu instid0(VALU_DEP_2)
	v_cmp_eq_u32_e64 s2, s2, v29
	s_and_saveexec_b32 s3, s2
	s_cbranch_execz .LBB2_224
; %bb.219:
	v_mov_b32_e32 v1, 0
	s_mov_b32 s10, exec_lo
	global_load_b64 v[4:5], v1, s[8:9] offset:24 scope:SCOPE_SYS
	s_wait_loadcnt 0x0
	global_inv scope:SCOPE_SYS
	s_clause 0x1
	global_load_b64 v[2:3], v1, s[8:9] offset:40
	global_load_b64 v[6:7], v1, s[8:9]
	s_wait_loadcnt 0x1
	v_and_b32_e32 v2, v2, v4
	v_and_b32_e32 v3, v3, v5
	s_delay_alu instid0(VALU_DEP_1) | instskip(SKIP_1) | instid1(VALU_DEP_1)
	v_mul_u64_e32 v[2:3], 24, v[2:3]
	s_wait_loadcnt 0x0
	v_add_nc_u64_e32 v[2:3], v[6:7], v[2:3]
	global_load_b64 v[2:3], v[2:3], off scope:SCOPE_SYS
	s_wait_xcnt 0x0
	s_wait_loadcnt 0x0
	global_atomic_cmpswap_b64 v[6:7], v1, v[2:5], s[8:9] offset:24 th:TH_ATOMIC_RETURN scope:SCOPE_SYS
	s_wait_loadcnt 0x0
	global_inv scope:SCOPE_SYS
	s_wait_xcnt 0x0
	v_cmpx_ne_u64_e64 v[6:7], v[4:5]
	s_cbranch_execz .LBB2_223
; %bb.220:
	s_mov_b32 s11, 0
.LBB2_221:                              ; =>This Inner Loop Header: Depth=1
	s_sleep 1
	s_clause 0x1
	global_load_b64 v[2:3], v1, s[8:9] offset:40
	global_load_b64 v[8:9], v1, s[8:9]
	v_mov_b64_e32 v[4:5], v[6:7]
	s_wait_loadcnt 0x1
	s_delay_alu instid0(VALU_DEP_1) | instskip(SKIP_1) | instid1(VALU_DEP_1)
	v_and_b32_e32 v2, v2, v4
	s_wait_loadcnt 0x0
	v_mad_nc_u64_u32 v[6:7], v2, 24, v[8:9]
	s_delay_alu instid0(VALU_DEP_3) | instskip(NEXT) | instid1(VALU_DEP_1)
	v_and_b32_e32 v2, v3, v5
	v_mad_u32 v7, v2, 24, v7
	global_load_b64 v[2:3], v[6:7], off scope:SCOPE_SYS
	s_wait_xcnt 0x0
	s_wait_loadcnt 0x0
	global_atomic_cmpswap_b64 v[6:7], v1, v[2:5], s[8:9] offset:24 th:TH_ATOMIC_RETURN scope:SCOPE_SYS
	s_wait_loadcnt 0x0
	global_inv scope:SCOPE_SYS
	v_cmp_eq_u64_e32 vcc_lo, v[6:7], v[4:5]
	s_or_b32 s11, vcc_lo, s11
	s_wait_xcnt 0x0
	s_and_not1_b32 exec_lo, exec_lo, s11
	s_cbranch_execnz .LBB2_221
; %bb.222:
	s_or_b32 exec_lo, exec_lo, s11
.LBB2_223:
	s_delay_alu instid0(SALU_CYCLE_1)
	s_or_b32 exec_lo, exec_lo, s10
.LBB2_224:
	s_delay_alu instid0(SALU_CYCLE_1)
	s_or_b32 exec_lo, exec_lo, s3
	v_readfirstlane_b32 s10, v6
	v_mov_b32_e32 v1, 0
	v_readfirstlane_b32 s11, v7
	s_mov_b32 s3, exec_lo
	s_clause 0x1
	global_load_b64 v[8:9], v1, s[8:9] offset:40
	global_load_b128 v[2:5], v1, s[8:9]
	s_wait_loadcnt 0x1
	v_and_b32_e32 v8, s10, v8
	v_and_b32_e32 v9, s11, v9
	s_delay_alu instid0(VALU_DEP_1) | instskip(SKIP_1) | instid1(VALU_DEP_1)
	v_mul_u64_e32 v[6:7], 24, v[8:9]
	s_wait_loadcnt 0x0
	v_add_nc_u64_e32 v[6:7], v[2:3], v[6:7]
	s_wait_xcnt 0x0
	s_and_saveexec_b32 s12, s2
	s_cbranch_execz .LBB2_226
; %bb.225:
	v_mov_b64_e32 v[12:13], 0x100000002
	v_dual_mov_b32 v10, s3 :: v_dual_mov_b32 v11, v1
	global_store_b128 v[6:7], v[10:13], off offset:8
.LBB2_226:
	s_wait_xcnt 0x0
	s_or_b32 exec_lo, exec_lo, s12
	v_lshlrev_b64_e32 v[8:9], 12, v[8:9]
	s_mov_b32 s12, 0
	v_dual_mov_b32 v10, 33 :: v_dual_mov_b32 v11, v1
	s_mov_b32 s14, s12
	s_mov_b32 s15, s12
	;; [unrolled: 1-line block ×3, first 2 shown]
	s_delay_alu instid0(VALU_DEP_2) | instskip(SKIP_3) | instid1(VALU_DEP_4)
	v_add_nc_u64_e32 v[8:9], v[4:5], v[8:9]
	v_mov_b64_e32 v[16:17], s[14:15]
	v_mov_b64_e32 v[14:15], s[12:13]
	v_dual_mov_b32 v12, v1 :: v_dual_mov_b32 v13, v1
	v_readfirstlane_b32 s16, v8
	v_readfirstlane_b32 s17, v9
	s_clause 0x3
	global_store_b128 v0, v[10:13], s[16:17]
	global_store_b128 v0, v[14:17], s[16:17] offset:16
	global_store_b128 v0, v[14:17], s[16:17] offset:32
	;; [unrolled: 1-line block ×3, first 2 shown]
	s_wait_xcnt 0x0
	s_and_saveexec_b32 s3, s2
	s_cbranch_execz .LBB2_234
; %bb.227:
	v_dual_mov_b32 v12, 0 :: v_dual_mov_b32 v15, s11
	s_mov_b32 s12, exec_lo
	s_clause 0x1
	global_load_b64 v[16:17], v12, s[8:9] offset:32 scope:SCOPE_SYS
	global_load_b64 v[4:5], v12, s[8:9] offset:40
	s_wait_loadcnt 0x0
	v_dual_mov_b32 v14, s10 :: v_dual_bitop2_b32 v5, s11, v5 bitop3:0x40
	v_and_b32_e32 v4, s10, v4
	s_delay_alu instid0(VALU_DEP_1) | instskip(NEXT) | instid1(VALU_DEP_1)
	v_mul_u64_e32 v[4:5], 24, v[4:5]
	v_add_nc_u64_e32 v[10:11], v[2:3], v[4:5]
	global_store_b64 v[10:11], v[16:17], off
	global_wb scope:SCOPE_SYS
	s_wait_storecnt 0x0
	s_wait_xcnt 0x0
	global_atomic_cmpswap_b64 v[4:5], v12, v[14:17], s[8:9] offset:32 th:TH_ATOMIC_RETURN scope:SCOPE_SYS
	s_wait_loadcnt 0x0
	v_cmpx_ne_u64_e64 v[4:5], v[16:17]
	s_cbranch_execz .LBB2_230
; %bb.228:
	s_mov_b32 s13, 0
.LBB2_229:                              ; =>This Inner Loop Header: Depth=1
	v_dual_mov_b32 v2, s10 :: v_dual_mov_b32 v3, s11
	s_sleep 1
	global_store_b64 v[10:11], v[4:5], off
	global_wb scope:SCOPE_SYS
	s_wait_storecnt 0x0
	s_wait_xcnt 0x0
	global_atomic_cmpswap_b64 v[2:3], v12, v[2:5], s[8:9] offset:32 th:TH_ATOMIC_RETURN scope:SCOPE_SYS
	s_wait_loadcnt 0x0
	v_cmp_eq_u64_e32 vcc_lo, v[2:3], v[4:5]
	v_mov_b64_e32 v[4:5], v[2:3]
	s_or_b32 s13, vcc_lo, s13
	s_delay_alu instid0(SALU_CYCLE_1)
	s_and_not1_b32 exec_lo, exec_lo, s13
	s_cbranch_execnz .LBB2_229
.LBB2_230:
	s_or_b32 exec_lo, exec_lo, s12
	v_mov_b32_e32 v5, 0
	s_mov_b32 s13, exec_lo
	s_mov_b32 s12, exec_lo
	v_mbcnt_lo_u32_b32 v4, s13, 0
	global_load_b64 v[2:3], v5, s[8:9] offset:16
	s_wait_xcnt 0x0
	v_cmpx_eq_u32_e32 0, v4
	s_cbranch_execz .LBB2_232
; %bb.231:
	s_bcnt1_i32_b32 s13, s13
	s_delay_alu instid0(SALU_CYCLE_1)
	v_mov_b32_e32 v4, s13
	global_wb scope:SCOPE_SYS
	s_wait_loadcnt 0x0
	s_wait_storecnt 0x0
	global_atomic_add_u64 v[2:3], v[4:5], off offset:8 scope:SCOPE_SYS
.LBB2_232:
	s_wait_xcnt 0x0
	s_or_b32 exec_lo, exec_lo, s12
	s_wait_loadcnt 0x0
	global_load_b64 v[4:5], v[2:3], off offset:16
	s_wait_loadcnt 0x0
	v_cmp_eq_u64_e32 vcc_lo, 0, v[4:5]
	s_cbranch_vccnz .LBB2_234
; %bb.233:
	global_load_b32 v2, v[2:3], off offset:24
	s_wait_xcnt 0x0
	v_mov_b32_e32 v3, 0
	s_wait_loadcnt 0x0
	v_readfirstlane_b32 s12, v2
	global_wb scope:SCOPE_SYS
	s_wait_storecnt 0x0
	global_store_b64 v[4:5], v[2:3], off scope:SCOPE_SYS
	s_and_b32 m0, s12, 0xffffff
	s_sendmsg sendmsg(MSG_INTERRUPT)
.LBB2_234:
	s_wait_xcnt 0x0
	s_or_b32 exec_lo, exec_lo, s3
	v_add_nc_u64_e32 v[2:3], v[8:9], v[0:1]
	s_branch .LBB2_238
.LBB2_235:                              ;   in Loop: Header=BB2_238 Depth=1
	s_wait_xcnt 0x0
	s_or_b32 exec_lo, exec_lo, s3
	s_delay_alu instid0(VALU_DEP_1)
	v_readfirstlane_b32 s3, v1
	s_cmp_eq_u32 s3, 0
	s_cbranch_scc1 .LBB2_237
; %bb.236:                              ;   in Loop: Header=BB2_238 Depth=1
	s_sleep 1
	s_cbranch_execnz .LBB2_238
	s_branch .LBB2_240
.LBB2_237:
	s_branch .LBB2_240
.LBB2_238:                              ; =>This Inner Loop Header: Depth=1
	v_mov_b32_e32 v1, 1
	s_and_saveexec_b32 s3, s2
	s_cbranch_execz .LBB2_235
; %bb.239:                              ;   in Loop: Header=BB2_238 Depth=1
	global_load_b32 v1, v[6:7], off offset:20 scope:SCOPE_SYS
	s_wait_loadcnt 0x0
	global_inv scope:SCOPE_SYS
	v_and_b32_e32 v1, 1, v1
	s_branch .LBB2_235
.LBB2_240:
	global_load_b64 v[2:3], v[2:3], off
	s_wait_xcnt 0x0
	s_and_saveexec_b32 s12, s2
	s_cbranch_execz .LBB2_244
; %bb.241:
	v_mov_b32_e32 v1, 0
	s_clause 0x2
	global_load_b64 v[4:5], v1, s[8:9] offset:40
	global_load_b64 v[12:13], v1, s[8:9] offset:24 scope:SCOPE_SYS
	global_load_b64 v[6:7], v1, s[8:9]
	s_wait_loadcnt 0x2
	v_readfirstlane_b32 s14, v4
	v_readfirstlane_b32 s15, v5
	s_add_nc_u64 s[2:3], s[14:15], 1
	s_delay_alu instid0(SALU_CYCLE_1) | instskip(NEXT) | instid1(SALU_CYCLE_1)
	s_add_nc_u64 s[10:11], s[2:3], s[10:11]
	s_cmp_eq_u64 s[10:11], 0
	s_cselect_b32 s3, s3, s11
	s_cselect_b32 s2, s2, s10
	v_mov_b32_e32 v11, s3
	s_and_b64 s[10:11], s[2:3], s[14:15]
	v_mov_b32_e32 v10, s2
	s_mul_u64 s[10:11], s[10:11], 24
	s_wait_loadcnt 0x0
	v_add_nc_u64_e32 v[8:9], s[10:11], v[6:7]
	global_store_b64 v[8:9], v[12:13], off
	global_wb scope:SCOPE_SYS
	s_wait_storecnt 0x0
	s_wait_xcnt 0x0
	global_atomic_cmpswap_b64 v[6:7], v1, v[10:13], s[8:9] offset:24 th:TH_ATOMIC_RETURN scope:SCOPE_SYS
	s_wait_loadcnt 0x0
	v_cmp_ne_u64_e32 vcc_lo, v[6:7], v[12:13]
	s_and_b32 exec_lo, exec_lo, vcc_lo
	s_cbranch_execz .LBB2_244
; %bb.242:
	s_mov_b32 s10, 0
.LBB2_243:                              ; =>This Inner Loop Header: Depth=1
	v_dual_mov_b32 v4, s2 :: v_dual_mov_b32 v5, s3
	s_sleep 1
	global_store_b64 v[8:9], v[6:7], off
	global_wb scope:SCOPE_SYS
	s_wait_storecnt 0x0
	s_wait_xcnt 0x0
	global_atomic_cmpswap_b64 v[4:5], v1, v[4:7], s[8:9] offset:24 th:TH_ATOMIC_RETURN scope:SCOPE_SYS
	s_wait_loadcnt 0x0
	v_cmp_eq_u64_e32 vcc_lo, v[4:5], v[6:7]
	v_mov_b64_e32 v[6:7], v[4:5]
	s_or_b32 s10, vcc_lo, s10
	s_delay_alu instid0(SALU_CYCLE_1)
	s_and_not1_b32 exec_lo, exec_lo, s10
	s_cbranch_execnz .LBB2_243
.LBB2_244:
	s_or_b32 exec_lo, exec_lo, s12
	s_get_pc_i64 s[10:11]
	s_add_nc_u64 s[10:11], s[10:11], .str.1@rel64+4
	s_delay_alu instid0(SALU_CYCLE_1)
	s_cmp_lg_u64 s[10:11], 0
	s_cbranch_scc0 .LBB2_323
; %bb.245:
	v_mov_b64_e32 v[10:11], 0x100000002
	s_wait_loadcnt 0x0
	v_dual_mov_b32 v9, 0 :: v_dual_bitop2_b32 v28, 2, v2 bitop3:0x40
	v_dual_mov_b32 v5, v3 :: v_dual_bitop2_b32 v4, -3, v2 bitop3:0x40
	s_mov_b64 s[12:13], 48
	s_branch .LBB2_247
.LBB2_246:                              ;   in Loop: Header=BB2_247 Depth=1
	s_or_b32 exec_lo, exec_lo, s18
	s_sub_nc_u64 s[12:13], s[12:13], s[14:15]
	s_add_nc_u64 s[10:11], s[10:11], s[14:15]
	s_cmp_lg_u64 s[12:13], 0
	s_cbranch_scc0 .LBB2_322
.LBB2_247:                              ; =>This Loop Header: Depth=1
                                        ;     Child Loop BB2_250 Depth 2
                                        ;     Child Loop BB2_257 Depth 2
	;; [unrolled: 1-line block ×11, first 2 shown]
	v_min_u64 v[6:7], s[12:13], 56
	v_cmp_gt_u64_e64 s2, s[12:13], 7
	s_and_b32 vcc_lo, exec_lo, s2
	v_readfirstlane_b32 s14, v6
	v_readfirstlane_b32 s15, v7
	s_cbranch_vccnz .LBB2_252
; %bb.248:                              ;   in Loop: Header=BB2_247 Depth=1
	v_mov_b64_e32 v[6:7], 0
	s_cmp_eq_u64 s[12:13], 0
	s_cbranch_scc1 .LBB2_251
; %bb.249:                              ;   in Loop: Header=BB2_247 Depth=1
	s_mov_b64 s[2:3], 0
	s_mov_b64 s[16:17], 0
.LBB2_250:                              ;   Parent Loop BB2_247 Depth=1
                                        ; =>  This Inner Loop Header: Depth=2
	s_wait_xcnt 0x0
	s_add_nc_u64 s[18:19], s[10:11], s[16:17]
	s_add_nc_u64 s[16:17], s[16:17], 1
	global_load_u8 v1, v9, s[18:19]
	s_cmp_lg_u32 s14, s16
	s_wait_loadcnt 0x0
	v_and_b32_e32 v8, 0xffff, v1
	s_delay_alu instid0(VALU_DEP_1) | instskip(SKIP_1) | instid1(VALU_DEP_1)
	v_lshlrev_b64_e32 v[12:13], s2, v[8:9]
	s_add_nc_u64 s[2:3], s[2:3], 8
	v_or_b32_e32 v6, v12, v6
	s_delay_alu instid0(VALU_DEP_2)
	v_or_b32_e32 v7, v13, v7
	s_cbranch_scc1 .LBB2_250
.LBB2_251:                              ;   in Loop: Header=BB2_247 Depth=1
	s_mov_b64 s[16:17], s[10:11]
	s_mov_b32 s20, 0
	s_cbranch_execz .LBB2_253
	s_branch .LBB2_254
.LBB2_252:                              ;   in Loop: Header=BB2_247 Depth=1
	s_add_nc_u64 s[16:17], s[10:11], 8
	s_mov_b32 s20, 0
.LBB2_253:                              ;   in Loop: Header=BB2_247 Depth=1
	global_load_b64 v[6:7], v9, s[10:11]
	s_add_co_i32 s20, s14, -8
.LBB2_254:                              ;   in Loop: Header=BB2_247 Depth=1
	s_delay_alu instid0(SALU_CYCLE_1)
	s_cmp_gt_u32 s20, 7
	s_cbranch_scc1 .LBB2_259
; %bb.255:                              ;   in Loop: Header=BB2_247 Depth=1
	v_mov_b64_e32 v[12:13], 0
	s_cmp_eq_u32 s20, 0
	s_cbranch_scc1 .LBB2_258
; %bb.256:                              ;   in Loop: Header=BB2_247 Depth=1
	s_mov_b64 s[2:3], 0
	s_wait_xcnt 0x0
	s_mov_b64 s[18:19], 0
.LBB2_257:                              ;   Parent Loop BB2_247 Depth=1
                                        ; =>  This Inner Loop Header: Depth=2
	s_wait_xcnt 0x0
	s_add_nc_u64 s[24:25], s[16:17], s[18:19]
	s_add_nc_u64 s[18:19], s[18:19], 1
	global_load_u8 v1, v9, s[24:25]
	s_cmp_lg_u32 s20, s18
	s_wait_loadcnt 0x0
	v_and_b32_e32 v8, 0xffff, v1
	s_delay_alu instid0(VALU_DEP_1) | instskip(SKIP_1) | instid1(VALU_DEP_1)
	v_lshlrev_b64_e32 v[14:15], s2, v[8:9]
	s_add_nc_u64 s[2:3], s[2:3], 8
	v_or_b32_e32 v12, v14, v12
	s_delay_alu instid0(VALU_DEP_2)
	v_or_b32_e32 v13, v15, v13
	s_cbranch_scc1 .LBB2_257
.LBB2_258:                              ;   in Loop: Header=BB2_247 Depth=1
	s_wait_xcnt 0x0
	s_mov_b64 s[2:3], s[16:17]
	s_mov_b32 s21, 0
	s_cbranch_execz .LBB2_260
	s_branch .LBB2_261
.LBB2_259:                              ;   in Loop: Header=BB2_247 Depth=1
	s_add_nc_u64 s[2:3], s[16:17], 8
	s_wait_xcnt 0x0
                                        ; implicit-def: $vgpr12_vgpr13
	s_mov_b32 s21, 0
.LBB2_260:                              ;   in Loop: Header=BB2_247 Depth=1
	global_load_b64 v[12:13], v9, s[16:17]
	s_add_co_i32 s21, s20, -8
.LBB2_261:                              ;   in Loop: Header=BB2_247 Depth=1
	s_delay_alu instid0(SALU_CYCLE_1)
	s_cmp_gt_u32 s21, 7
	s_cbranch_scc1 .LBB2_266
; %bb.262:                              ;   in Loop: Header=BB2_247 Depth=1
	v_mov_b64_e32 v[14:15], 0
	s_cmp_eq_u32 s21, 0
	s_cbranch_scc1 .LBB2_265
; %bb.263:                              ;   in Loop: Header=BB2_247 Depth=1
	s_wait_xcnt 0x0
	s_mov_b64 s[16:17], 0
	s_mov_b64 s[18:19], 0
.LBB2_264:                              ;   Parent Loop BB2_247 Depth=1
                                        ; =>  This Inner Loop Header: Depth=2
	s_wait_xcnt 0x0
	s_add_nc_u64 s[24:25], s[2:3], s[18:19]
	s_add_nc_u64 s[18:19], s[18:19], 1
	global_load_u8 v1, v9, s[24:25]
	s_cmp_lg_u32 s21, s18
	s_wait_loadcnt 0x0
	v_and_b32_e32 v8, 0xffff, v1
	s_delay_alu instid0(VALU_DEP_1) | instskip(SKIP_1) | instid1(VALU_DEP_1)
	v_lshlrev_b64_e32 v[16:17], s16, v[8:9]
	s_add_nc_u64 s[16:17], s[16:17], 8
	v_or_b32_e32 v14, v16, v14
	s_delay_alu instid0(VALU_DEP_2)
	v_or_b32_e32 v15, v17, v15
	s_cbranch_scc1 .LBB2_264
.LBB2_265:                              ;   in Loop: Header=BB2_247 Depth=1
	s_wait_xcnt 0x0
	s_mov_b64 s[16:17], s[2:3]
	s_mov_b32 s20, 0
	s_cbranch_execz .LBB2_267
	s_branch .LBB2_268
.LBB2_266:                              ;   in Loop: Header=BB2_247 Depth=1
	s_wait_xcnt 0x0
	s_add_nc_u64 s[16:17], s[2:3], 8
	s_mov_b32 s20, 0
.LBB2_267:                              ;   in Loop: Header=BB2_247 Depth=1
	global_load_b64 v[14:15], v9, s[2:3]
	s_add_co_i32 s20, s21, -8
.LBB2_268:                              ;   in Loop: Header=BB2_247 Depth=1
	s_delay_alu instid0(SALU_CYCLE_1)
	s_cmp_gt_u32 s20, 7
	s_cbranch_scc1 .LBB2_273
; %bb.269:                              ;   in Loop: Header=BB2_247 Depth=1
	v_mov_b64_e32 v[16:17], 0
	s_cmp_eq_u32 s20, 0
	s_cbranch_scc1 .LBB2_272
; %bb.270:                              ;   in Loop: Header=BB2_247 Depth=1
	s_wait_xcnt 0x0
	s_mov_b64 s[2:3], 0
	s_mov_b64 s[18:19], 0
.LBB2_271:                              ;   Parent Loop BB2_247 Depth=1
                                        ; =>  This Inner Loop Header: Depth=2
	s_wait_xcnt 0x0
	s_add_nc_u64 s[24:25], s[16:17], s[18:19]
	s_add_nc_u64 s[18:19], s[18:19], 1
	global_load_u8 v1, v9, s[24:25]
	s_cmp_lg_u32 s20, s18
	s_wait_loadcnt 0x0
	v_and_b32_e32 v8, 0xffff, v1
	s_delay_alu instid0(VALU_DEP_1) | instskip(SKIP_1) | instid1(VALU_DEP_1)
	v_lshlrev_b64_e32 v[18:19], s2, v[8:9]
	s_add_nc_u64 s[2:3], s[2:3], 8
	v_or_b32_e32 v16, v18, v16
	s_delay_alu instid0(VALU_DEP_2)
	v_or_b32_e32 v17, v19, v17
	s_cbranch_scc1 .LBB2_271
.LBB2_272:                              ;   in Loop: Header=BB2_247 Depth=1
	s_wait_xcnt 0x0
	s_mov_b64 s[2:3], s[16:17]
	s_mov_b32 s21, 0
	s_cbranch_execz .LBB2_274
	s_branch .LBB2_275
.LBB2_273:                              ;   in Loop: Header=BB2_247 Depth=1
	s_wait_xcnt 0x0
	s_add_nc_u64 s[2:3], s[16:17], 8
                                        ; implicit-def: $vgpr16_vgpr17
	s_mov_b32 s21, 0
.LBB2_274:                              ;   in Loop: Header=BB2_247 Depth=1
	global_load_b64 v[16:17], v9, s[16:17]
	s_add_co_i32 s21, s20, -8
.LBB2_275:                              ;   in Loop: Header=BB2_247 Depth=1
	s_delay_alu instid0(SALU_CYCLE_1)
	s_cmp_gt_u32 s21, 7
	s_cbranch_scc1 .LBB2_280
; %bb.276:                              ;   in Loop: Header=BB2_247 Depth=1
	v_mov_b64_e32 v[18:19], 0
	s_cmp_eq_u32 s21, 0
	s_cbranch_scc1 .LBB2_279
; %bb.277:                              ;   in Loop: Header=BB2_247 Depth=1
	s_wait_xcnt 0x0
	s_mov_b64 s[16:17], 0
	s_mov_b64 s[18:19], 0
.LBB2_278:                              ;   Parent Loop BB2_247 Depth=1
                                        ; =>  This Inner Loop Header: Depth=2
	s_wait_xcnt 0x0
	s_add_nc_u64 s[24:25], s[2:3], s[18:19]
	s_add_nc_u64 s[18:19], s[18:19], 1
	global_load_u8 v1, v9, s[24:25]
	s_cmp_lg_u32 s21, s18
	s_wait_loadcnt 0x0
	v_and_b32_e32 v8, 0xffff, v1
	s_delay_alu instid0(VALU_DEP_1) | instskip(SKIP_1) | instid1(VALU_DEP_1)
	v_lshlrev_b64_e32 v[20:21], s16, v[8:9]
	s_add_nc_u64 s[16:17], s[16:17], 8
	v_or_b32_e32 v18, v20, v18
	s_delay_alu instid0(VALU_DEP_2)
	v_or_b32_e32 v19, v21, v19
	s_cbranch_scc1 .LBB2_278
.LBB2_279:                              ;   in Loop: Header=BB2_247 Depth=1
	s_wait_xcnt 0x0
	s_mov_b64 s[16:17], s[2:3]
	s_mov_b32 s20, 0
	s_cbranch_execz .LBB2_281
	s_branch .LBB2_282
.LBB2_280:                              ;   in Loop: Header=BB2_247 Depth=1
	s_wait_xcnt 0x0
	s_add_nc_u64 s[16:17], s[2:3], 8
	s_mov_b32 s20, 0
.LBB2_281:                              ;   in Loop: Header=BB2_247 Depth=1
	global_load_b64 v[18:19], v9, s[2:3]
	s_add_co_i32 s20, s21, -8
.LBB2_282:                              ;   in Loop: Header=BB2_247 Depth=1
	s_delay_alu instid0(SALU_CYCLE_1)
	s_cmp_gt_u32 s20, 7
	s_cbranch_scc1 .LBB2_287
; %bb.283:                              ;   in Loop: Header=BB2_247 Depth=1
	v_mov_b64_e32 v[20:21], 0
	s_cmp_eq_u32 s20, 0
	s_cbranch_scc1 .LBB2_286
; %bb.284:                              ;   in Loop: Header=BB2_247 Depth=1
	s_wait_xcnt 0x0
	s_mov_b64 s[2:3], 0
	s_mov_b64 s[18:19], 0
.LBB2_285:                              ;   Parent Loop BB2_247 Depth=1
                                        ; =>  This Inner Loop Header: Depth=2
	s_wait_xcnt 0x0
	s_add_nc_u64 s[24:25], s[16:17], s[18:19]
	s_add_nc_u64 s[18:19], s[18:19], 1
	global_load_u8 v1, v9, s[24:25]
	s_cmp_lg_u32 s20, s18
	s_wait_loadcnt 0x0
	v_and_b32_e32 v8, 0xffff, v1
	s_delay_alu instid0(VALU_DEP_1) | instskip(SKIP_1) | instid1(VALU_DEP_1)
	v_lshlrev_b64_e32 v[22:23], s2, v[8:9]
	s_add_nc_u64 s[2:3], s[2:3], 8
	v_or_b32_e32 v20, v22, v20
	s_delay_alu instid0(VALU_DEP_2)
	v_or_b32_e32 v21, v23, v21
	s_cbranch_scc1 .LBB2_285
.LBB2_286:                              ;   in Loop: Header=BB2_247 Depth=1
	s_wait_xcnt 0x0
	s_mov_b64 s[2:3], s[16:17]
	s_mov_b32 s21, 0
	s_cbranch_execz .LBB2_288
	s_branch .LBB2_289
.LBB2_287:                              ;   in Loop: Header=BB2_247 Depth=1
	s_wait_xcnt 0x0
	s_add_nc_u64 s[2:3], s[16:17], 8
                                        ; implicit-def: $vgpr20_vgpr21
	s_mov_b32 s21, 0
.LBB2_288:                              ;   in Loop: Header=BB2_247 Depth=1
	global_load_b64 v[20:21], v9, s[16:17]
	s_add_co_i32 s21, s20, -8
.LBB2_289:                              ;   in Loop: Header=BB2_247 Depth=1
	s_delay_alu instid0(SALU_CYCLE_1)
	s_cmp_gt_u32 s21, 7
	s_cbranch_scc1 .LBB2_294
; %bb.290:                              ;   in Loop: Header=BB2_247 Depth=1
	v_mov_b64_e32 v[22:23], 0
	s_cmp_eq_u32 s21, 0
	s_cbranch_scc1 .LBB2_293
; %bb.291:                              ;   in Loop: Header=BB2_247 Depth=1
	s_wait_xcnt 0x0
	s_mov_b64 s[16:17], 0
	s_mov_b64 s[18:19], s[2:3]
.LBB2_292:                              ;   Parent Loop BB2_247 Depth=1
                                        ; =>  This Inner Loop Header: Depth=2
	global_load_u8 v1, v9, s[18:19]
	s_add_co_i32 s21, s21, -1
	s_wait_xcnt 0x0
	s_add_nc_u64 s[18:19], s[18:19], 1
	s_cmp_lg_u32 s21, 0
	s_wait_loadcnt 0x0
	v_and_b32_e32 v8, 0xffff, v1
	s_delay_alu instid0(VALU_DEP_1) | instskip(SKIP_1) | instid1(VALU_DEP_1)
	v_lshlrev_b64_e32 v[24:25], s16, v[8:9]
	s_add_nc_u64 s[16:17], s[16:17], 8
	v_or_b32_e32 v22, v24, v22
	s_delay_alu instid0(VALU_DEP_2)
	v_or_b32_e32 v23, v25, v23
	s_cbranch_scc1 .LBB2_292
.LBB2_293:                              ;   in Loop: Header=BB2_247 Depth=1
	s_wait_xcnt 0x0
	s_cbranch_execz .LBB2_295
	s_branch .LBB2_296
.LBB2_294:                              ;   in Loop: Header=BB2_247 Depth=1
	s_wait_xcnt 0x0
.LBB2_295:                              ;   in Loop: Header=BB2_247 Depth=1
	global_load_b64 v[22:23], v9, s[2:3]
.LBB2_296:                              ;   in Loop: Header=BB2_247 Depth=1
	s_wait_xcnt 0x0
	v_readfirstlane_b32 s2, v29
	v_mov_b64_e32 v[30:31], 0
	s_delay_alu instid0(VALU_DEP_2)
	v_cmp_eq_u32_e64 s2, s2, v29
	s_and_saveexec_b32 s3, s2
	s_cbranch_execz .LBB2_302
; %bb.297:                              ;   in Loop: Header=BB2_247 Depth=1
	global_load_b64 v[26:27], v9, s[8:9] offset:24 scope:SCOPE_SYS
	s_wait_loadcnt 0x0
	global_inv scope:SCOPE_SYS
	s_clause 0x1
	global_load_b64 v[24:25], v9, s[8:9] offset:40
	global_load_b64 v[30:31], v9, s[8:9]
	s_mov_b32 s16, exec_lo
	s_wait_loadcnt 0x1
	v_and_b32_e32 v24, v24, v26
	v_and_b32_e32 v25, v25, v27
	s_delay_alu instid0(VALU_DEP_1) | instskip(SKIP_1) | instid1(VALU_DEP_1)
	v_mul_u64_e32 v[24:25], 24, v[24:25]
	s_wait_loadcnt 0x0
	v_add_nc_u64_e32 v[24:25], v[30:31], v[24:25]
	global_load_b64 v[24:25], v[24:25], off scope:SCOPE_SYS
	s_wait_xcnt 0x0
	s_wait_loadcnt 0x0
	global_atomic_cmpswap_b64 v[30:31], v9, v[24:27], s[8:9] offset:24 th:TH_ATOMIC_RETURN scope:SCOPE_SYS
	s_wait_loadcnt 0x0
	global_inv scope:SCOPE_SYS
	s_wait_xcnt 0x0
	v_cmpx_ne_u64_e64 v[30:31], v[26:27]
	s_cbranch_execz .LBB2_301
; %bb.298:                              ;   in Loop: Header=BB2_247 Depth=1
	s_mov_b32 s17, 0
.LBB2_299:                              ;   Parent Loop BB2_247 Depth=1
                                        ; =>  This Inner Loop Header: Depth=2
	s_sleep 1
	s_clause 0x1
	global_load_b64 v[24:25], v9, s[8:9] offset:40
	global_load_b64 v[34:35], v9, s[8:9]
	v_mov_b64_e32 v[26:27], v[30:31]
	s_wait_loadcnt 0x1
	s_delay_alu instid0(VALU_DEP_1) | instskip(SKIP_1) | instid1(VALU_DEP_1)
	v_and_b32_e32 v1, v24, v26
	s_wait_loadcnt 0x0
	v_mad_nc_u64_u32 v[30:31], v1, 24, v[34:35]
	s_delay_alu instid0(VALU_DEP_3) | instskip(NEXT) | instid1(VALU_DEP_1)
	v_and_b32_e32 v1, v25, v27
	v_mad_u32 v31, v1, 24, v31
	global_load_b64 v[24:25], v[30:31], off scope:SCOPE_SYS
	s_wait_xcnt 0x0
	s_wait_loadcnt 0x0
	global_atomic_cmpswap_b64 v[30:31], v9, v[24:27], s[8:9] offset:24 th:TH_ATOMIC_RETURN scope:SCOPE_SYS
	s_wait_loadcnt 0x0
	global_inv scope:SCOPE_SYS
	v_cmp_eq_u64_e32 vcc_lo, v[30:31], v[26:27]
	s_or_b32 s17, vcc_lo, s17
	s_wait_xcnt 0x0
	s_and_not1_b32 exec_lo, exec_lo, s17
	s_cbranch_execnz .LBB2_299
; %bb.300:                              ;   in Loop: Header=BB2_247 Depth=1
	s_or_b32 exec_lo, exec_lo, s17
.LBB2_301:                              ;   in Loop: Header=BB2_247 Depth=1
	s_delay_alu instid0(SALU_CYCLE_1)
	s_or_b32 exec_lo, exec_lo, s16
.LBB2_302:                              ;   in Loop: Header=BB2_247 Depth=1
	s_delay_alu instid0(SALU_CYCLE_1)
	s_or_b32 exec_lo, exec_lo, s3
	s_clause 0x1
	global_load_b64 v[34:35], v9, s[8:9] offset:40
	global_load_b128 v[24:27], v9, s[8:9]
	v_readfirstlane_b32 s16, v30
	v_readfirstlane_b32 s17, v31
	s_mov_b32 s3, exec_lo
	s_wait_loadcnt 0x1
	v_and_b32_e32 v34, s16, v34
	v_and_b32_e32 v35, s17, v35
	s_delay_alu instid0(VALU_DEP_1) | instskip(SKIP_1) | instid1(VALU_DEP_1)
	v_mul_u64_e32 v[30:31], 24, v[34:35]
	s_wait_loadcnt 0x0
	v_add_nc_u64_e32 v[30:31], v[24:25], v[30:31]
	s_wait_xcnt 0x0
	s_and_saveexec_b32 s18, s2
	s_cbranch_execz .LBB2_304
; %bb.303:                              ;   in Loop: Header=BB2_247 Depth=1
	v_mov_b32_e32 v8, s3
	global_store_b128 v[30:31], v[8:11], off offset:8
.LBB2_304:                              ;   in Loop: Header=BB2_247 Depth=1
	s_wait_xcnt 0x0
	s_or_b32 exec_lo, exec_lo, s18
	v_cmp_lt_u64_e64 vcc_lo, s[12:13], 57
	v_lshlrev_b64_e32 v[34:35], 12, v[34:35]
	v_and_b32_e32 v4, 0xffffff1f, v4
	s_lshl_b32 s3, s14, 2
	s_delay_alu instid0(SALU_CYCLE_1) | instskip(SKIP_1) | instid1(VALU_DEP_3)
	s_add_co_i32 s3, s3, 28
	v_cndmask_b32_e32 v1, 0, v28, vcc_lo
	v_add_nc_u64_e32 v[26:27], v[26:27], v[34:35]
	s_delay_alu instid0(VALU_DEP_2) | instskip(NEXT) | instid1(VALU_DEP_2)
	v_or_b32_e32 v1, v4, v1
	v_readfirstlane_b32 s18, v26
	s_delay_alu instid0(VALU_DEP_3) | instskip(NEXT) | instid1(VALU_DEP_3)
	v_readfirstlane_b32 s19, v27
	v_and_or_b32 v4, 0x1e0, s3, v1
	s_clause 0x3
	global_store_b128 v0, v[4:7], s[18:19]
	global_store_b128 v0, v[12:15], s[18:19] offset:16
	global_store_b128 v0, v[16:19], s[18:19] offset:32
	;; [unrolled: 1-line block ×3, first 2 shown]
	s_wait_xcnt 0x0
	s_and_saveexec_b32 s3, s2
	s_cbranch_execz .LBB2_312
; %bb.305:                              ;   in Loop: Header=BB2_247 Depth=1
	s_clause 0x1
	global_load_b64 v[16:17], v9, s[8:9] offset:32 scope:SCOPE_SYS
	global_load_b64 v[4:5], v9, s[8:9] offset:40
	s_mov_b32 s18, exec_lo
	v_dual_mov_b32 v14, s16 :: v_dual_mov_b32 v15, s17
	s_wait_loadcnt 0x0
	v_and_b32_e32 v5, s17, v5
	v_and_b32_e32 v4, s16, v4
	s_delay_alu instid0(VALU_DEP_1) | instskip(NEXT) | instid1(VALU_DEP_1)
	v_mul_u64_e32 v[4:5], 24, v[4:5]
	v_add_nc_u64_e32 v[12:13], v[24:25], v[4:5]
	global_store_b64 v[12:13], v[16:17], off
	global_wb scope:SCOPE_SYS
	s_wait_storecnt 0x0
	s_wait_xcnt 0x0
	global_atomic_cmpswap_b64 v[6:7], v9, v[14:17], s[8:9] offset:32 th:TH_ATOMIC_RETURN scope:SCOPE_SYS
	s_wait_loadcnt 0x0
	v_cmpx_ne_u64_e64 v[6:7], v[16:17]
	s_cbranch_execz .LBB2_308
; %bb.306:                              ;   in Loop: Header=BB2_247 Depth=1
	s_mov_b32 s19, 0
.LBB2_307:                              ;   Parent Loop BB2_247 Depth=1
                                        ; =>  This Inner Loop Header: Depth=2
	v_dual_mov_b32 v4, s16 :: v_dual_mov_b32 v5, s17
	s_sleep 1
	global_store_b64 v[12:13], v[6:7], off
	global_wb scope:SCOPE_SYS
	s_wait_storecnt 0x0
	s_wait_xcnt 0x0
	global_atomic_cmpswap_b64 v[4:5], v9, v[4:7], s[8:9] offset:32 th:TH_ATOMIC_RETURN scope:SCOPE_SYS
	s_wait_loadcnt 0x0
	v_cmp_eq_u64_e32 vcc_lo, v[4:5], v[6:7]
	v_mov_b64_e32 v[6:7], v[4:5]
	s_or_b32 s19, vcc_lo, s19
	s_delay_alu instid0(SALU_CYCLE_1)
	s_and_not1_b32 exec_lo, exec_lo, s19
	s_cbranch_execnz .LBB2_307
.LBB2_308:                              ;   in Loop: Header=BB2_247 Depth=1
	s_or_b32 exec_lo, exec_lo, s18
	global_load_b64 v[4:5], v9, s[8:9] offset:16
	s_mov_b32 s19, exec_lo
	s_mov_b32 s18, exec_lo
	v_mbcnt_lo_u32_b32 v1, s19, 0
	s_wait_xcnt 0x0
	s_delay_alu instid0(VALU_DEP_1)
	v_cmpx_eq_u32_e32 0, v1
	s_cbranch_execz .LBB2_310
; %bb.309:                              ;   in Loop: Header=BB2_247 Depth=1
	s_bcnt1_i32_b32 s19, s19
	s_delay_alu instid0(SALU_CYCLE_1)
	v_mov_b32_e32 v8, s19
	global_wb scope:SCOPE_SYS
	s_wait_loadcnt 0x0
	s_wait_storecnt 0x0
	global_atomic_add_u64 v[4:5], v[8:9], off offset:8 scope:SCOPE_SYS
.LBB2_310:                              ;   in Loop: Header=BB2_247 Depth=1
	s_wait_xcnt 0x0
	s_or_b32 exec_lo, exec_lo, s18
	s_wait_loadcnt 0x0
	global_load_b64 v[6:7], v[4:5], off offset:16
	s_wait_loadcnt 0x0
	v_cmp_eq_u64_e32 vcc_lo, 0, v[6:7]
	s_cbranch_vccnz .LBB2_312
; %bb.311:                              ;   in Loop: Header=BB2_247 Depth=1
	global_load_b32 v8, v[4:5], off offset:24
	s_wait_loadcnt 0x0
	v_readfirstlane_b32 s18, v8
	global_wb scope:SCOPE_SYS
	s_wait_storecnt 0x0
	s_wait_xcnt 0x0
	global_store_b64 v[6:7], v[8:9], off scope:SCOPE_SYS
	s_and_b32 m0, s18, 0xffffff
	s_sendmsg sendmsg(MSG_INTERRUPT)
.LBB2_312:                              ;   in Loop: Header=BB2_247 Depth=1
	s_wait_xcnt 0x0
	s_or_b32 exec_lo, exec_lo, s3
	v_mov_b32_e32 v1, v9
	s_delay_alu instid0(VALU_DEP_1)
	v_add_nc_u64_e32 v[4:5], v[26:27], v[0:1]
	s_branch .LBB2_316
.LBB2_313:                              ;   in Loop: Header=BB2_316 Depth=2
	s_wait_xcnt 0x0
	s_or_b32 exec_lo, exec_lo, s3
	s_delay_alu instid0(VALU_DEP_1)
	v_readfirstlane_b32 s3, v1
	s_cmp_eq_u32 s3, 0
	s_cbranch_scc1 .LBB2_315
; %bb.314:                              ;   in Loop: Header=BB2_316 Depth=2
	s_sleep 1
	s_cbranch_execnz .LBB2_316
	s_branch .LBB2_318
.LBB2_315:                              ;   in Loop: Header=BB2_247 Depth=1
	s_branch .LBB2_318
.LBB2_316:                              ;   Parent Loop BB2_247 Depth=1
                                        ; =>  This Inner Loop Header: Depth=2
	v_mov_b32_e32 v1, 1
	s_and_saveexec_b32 s3, s2
	s_cbranch_execz .LBB2_313
; %bb.317:                              ;   in Loop: Header=BB2_316 Depth=2
	global_load_b32 v1, v[30:31], off offset:20 scope:SCOPE_SYS
	s_wait_loadcnt 0x0
	global_inv scope:SCOPE_SYS
	v_and_b32_e32 v1, 1, v1
	s_branch .LBB2_313
.LBB2_318:                              ;   in Loop: Header=BB2_247 Depth=1
	global_load_b64 v[4:5], v[4:5], off
	s_wait_xcnt 0x0
	s_and_saveexec_b32 s18, s2
	s_cbranch_execz .LBB2_246
; %bb.319:                              ;   in Loop: Header=BB2_247 Depth=1
	s_clause 0x2
	global_load_b64 v[6:7], v9, s[8:9] offset:40
	global_load_b64 v[16:17], v9, s[8:9] offset:24 scope:SCOPE_SYS
	global_load_b64 v[12:13], v9, s[8:9]
	s_wait_loadcnt 0x2
	v_readfirstlane_b32 s20, v6
	v_readfirstlane_b32 s21, v7
	s_add_nc_u64 s[2:3], s[20:21], 1
	s_delay_alu instid0(SALU_CYCLE_1) | instskip(NEXT) | instid1(SALU_CYCLE_1)
	s_add_nc_u64 s[16:17], s[2:3], s[16:17]
	s_cmp_eq_u64 s[16:17], 0
	s_cselect_b32 s3, s3, s17
	s_cselect_b32 s2, s2, s16
	s_delay_alu instid0(SALU_CYCLE_1) | instskip(SKIP_1) | instid1(SALU_CYCLE_1)
	v_dual_mov_b32 v15, s3 :: v_dual_mov_b32 v14, s2
	s_and_b64 s[16:17], s[2:3], s[20:21]
	s_mul_u64 s[16:17], s[16:17], 24
	s_wait_loadcnt 0x0
	v_add_nc_u64_e32 v[6:7], s[16:17], v[12:13]
	global_store_b64 v[6:7], v[16:17], off
	global_wb scope:SCOPE_SYS
	s_wait_storecnt 0x0
	s_wait_xcnt 0x0
	global_atomic_cmpswap_b64 v[14:15], v9, v[14:17], s[8:9] offset:24 th:TH_ATOMIC_RETURN scope:SCOPE_SYS
	s_wait_loadcnt 0x0
	v_cmp_ne_u64_e32 vcc_lo, v[14:15], v[16:17]
	s_and_b32 exec_lo, exec_lo, vcc_lo
	s_cbranch_execz .LBB2_246
; %bb.320:                              ;   in Loop: Header=BB2_247 Depth=1
	s_mov_b32 s16, 0
.LBB2_321:                              ;   Parent Loop BB2_247 Depth=1
                                        ; =>  This Inner Loop Header: Depth=2
	v_dual_mov_b32 v12, s2 :: v_dual_mov_b32 v13, s3
	s_sleep 1
	global_store_b64 v[6:7], v[14:15], off
	global_wb scope:SCOPE_SYS
	s_wait_storecnt 0x0
	s_wait_xcnt 0x0
	global_atomic_cmpswap_b64 v[12:13], v9, v[12:15], s[8:9] offset:24 th:TH_ATOMIC_RETURN scope:SCOPE_SYS
	s_wait_loadcnt 0x0
	v_cmp_eq_u64_e32 vcc_lo, v[12:13], v[14:15]
	v_mov_b64_e32 v[14:15], v[12:13]
	s_or_b32 s16, vcc_lo, s16
	s_delay_alu instid0(SALU_CYCLE_1)
	s_and_not1_b32 exec_lo, exec_lo, s16
	s_cbranch_execnz .LBB2_321
	s_branch .LBB2_246
.LBB2_322:
	s_branch .LBB2_351
.LBB2_323:
                                        ; implicit-def: $vgpr4_vgpr5
	s_cbranch_execz .LBB2_351
; %bb.324:
	v_readfirstlane_b32 s2, v29
	s_wait_loadcnt 0x0
	v_mov_b64_e32 v[4:5], 0
	s_delay_alu instid0(VALU_DEP_2)
	v_cmp_eq_u32_e64 s2, s2, v29
	s_and_saveexec_b32 s3, s2
	s_cbranch_execz .LBB2_330
; %bb.325:
	v_mov_b32_e32 v1, 0
	s_mov_b32 s10, exec_lo
	global_load_b64 v[6:7], v1, s[8:9] offset:24 scope:SCOPE_SYS
	s_wait_loadcnt 0x0
	global_inv scope:SCOPE_SYS
	s_clause 0x1
	global_load_b64 v[4:5], v1, s[8:9] offset:40
	global_load_b64 v[8:9], v1, s[8:9]
	s_wait_loadcnt 0x1
	v_and_b32_e32 v4, v4, v6
	v_and_b32_e32 v5, v5, v7
	s_delay_alu instid0(VALU_DEP_1) | instskip(SKIP_1) | instid1(VALU_DEP_1)
	v_mul_u64_e32 v[4:5], 24, v[4:5]
	s_wait_loadcnt 0x0
	v_add_nc_u64_e32 v[4:5], v[8:9], v[4:5]
	global_load_b64 v[4:5], v[4:5], off scope:SCOPE_SYS
	s_wait_xcnt 0x0
	s_wait_loadcnt 0x0
	global_atomic_cmpswap_b64 v[4:5], v1, v[4:7], s[8:9] offset:24 th:TH_ATOMIC_RETURN scope:SCOPE_SYS
	s_wait_loadcnt 0x0
	global_inv scope:SCOPE_SYS
	s_wait_xcnt 0x0
	v_cmpx_ne_u64_e64 v[4:5], v[6:7]
	s_cbranch_execz .LBB2_329
; %bb.326:
	s_mov_b32 s11, 0
.LBB2_327:                              ; =>This Inner Loop Header: Depth=1
	s_sleep 1
	s_clause 0x1
	global_load_b64 v[8:9], v1, s[8:9] offset:40
	global_load_b64 v[10:11], v1, s[8:9]
	v_mov_b64_e32 v[6:7], v[4:5]
	s_wait_loadcnt 0x1
	s_delay_alu instid0(VALU_DEP_1) | instskip(NEXT) | instid1(VALU_DEP_2)
	v_and_b32_e32 v4, v8, v6
	v_and_b32_e32 v8, v9, v7
	s_wait_loadcnt 0x0
	s_delay_alu instid0(VALU_DEP_2) | instskip(NEXT) | instid1(VALU_DEP_1)
	v_mad_nc_u64_u32 v[4:5], v4, 24, v[10:11]
	v_mad_u32 v5, v8, 24, v5
	global_load_b64 v[4:5], v[4:5], off scope:SCOPE_SYS
	s_wait_xcnt 0x0
	s_wait_loadcnt 0x0
	global_atomic_cmpswap_b64 v[4:5], v1, v[4:7], s[8:9] offset:24 th:TH_ATOMIC_RETURN scope:SCOPE_SYS
	s_wait_loadcnt 0x0
	global_inv scope:SCOPE_SYS
	v_cmp_eq_u64_e32 vcc_lo, v[4:5], v[6:7]
	s_or_b32 s11, vcc_lo, s11
	s_wait_xcnt 0x0
	s_and_not1_b32 exec_lo, exec_lo, s11
	s_cbranch_execnz .LBB2_327
; %bb.328:
	s_or_b32 exec_lo, exec_lo, s11
.LBB2_329:
	s_delay_alu instid0(SALU_CYCLE_1)
	s_or_b32 exec_lo, exec_lo, s10
.LBB2_330:
	s_delay_alu instid0(SALU_CYCLE_1)
	s_or_b32 exec_lo, exec_lo, s3
	v_readfirstlane_b32 s10, v4
	v_mov_b32_e32 v1, 0
	v_readfirstlane_b32 s11, v5
	s_mov_b32 s3, exec_lo
	s_clause 0x1
	global_load_b64 v[10:11], v1, s[8:9] offset:40
	global_load_b128 v[6:9], v1, s[8:9]
	s_wait_loadcnt 0x1
	v_and_b32_e32 v4, s10, v10
	v_and_b32_e32 v5, s11, v11
	s_delay_alu instid0(VALU_DEP_1) | instskip(SKIP_1) | instid1(VALU_DEP_1)
	v_mul_u64_e32 v[10:11], 24, v[4:5]
	s_wait_loadcnt 0x0
	v_add_nc_u64_e32 v[10:11], v[6:7], v[10:11]
	s_wait_xcnt 0x0
	s_and_saveexec_b32 s12, s2
	s_cbranch_execz .LBB2_332
; %bb.331:
	v_mov_b64_e32 v[14:15], 0x100000002
	v_dual_mov_b32 v12, s3 :: v_dual_mov_b32 v13, v1
	global_store_b128 v[10:11], v[12:15], off offset:8
.LBB2_332:
	s_wait_xcnt 0x0
	s_or_b32 exec_lo, exec_lo, s12
	v_lshlrev_b64_e32 v[4:5], 12, v[4:5]
	s_mov_b32 s12, 0
	v_and_or_b32 v2, 0xffffff1f, v2, 32
	s_mov_b32 s13, s12
	s_mov_b32 s14, s12
	;; [unrolled: 1-line block ×3, first 2 shown]
	v_mov_b64_e32 v[12:13], s[12:13]
	v_add_nc_u64_e32 v[8:9], v[8:9], v[4:5]
	v_mov_b64_e32 v[14:15], s[14:15]
	v_dual_mov_b32 v4, v1 :: v_dual_mov_b32 v5, v1
	s_delay_alu instid0(VALU_DEP_3) | instskip(NEXT) | instid1(VALU_DEP_4)
	v_readfirstlane_b32 s16, v8
	v_readfirstlane_b32 s17, v9
	s_clause 0x3
	global_store_b128 v0, v[2:5], s[16:17]
	global_store_b128 v0, v[12:15], s[16:17] offset:16
	global_store_b128 v0, v[12:15], s[16:17] offset:32
	global_store_b128 v0, v[12:15], s[16:17] offset:48
	s_wait_xcnt 0x0
	s_and_saveexec_b32 s3, s2
	s_cbranch_execz .LBB2_340
; %bb.333:
	v_dual_mov_b32 v12, 0 :: v_dual_mov_b32 v15, s11
	s_mov_b32 s12, exec_lo
	s_clause 0x1
	global_load_b64 v[16:17], v12, s[8:9] offset:32 scope:SCOPE_SYS
	global_load_b64 v[2:3], v12, s[8:9] offset:40
	s_wait_loadcnt 0x0
	v_dual_mov_b32 v14, s10 :: v_dual_bitop2_b32 v3, s11, v3 bitop3:0x40
	v_and_b32_e32 v2, s10, v2
	s_delay_alu instid0(VALU_DEP_1) | instskip(NEXT) | instid1(VALU_DEP_1)
	v_mul_u64_e32 v[2:3], 24, v[2:3]
	v_add_nc_u64_e32 v[6:7], v[6:7], v[2:3]
	global_store_b64 v[6:7], v[16:17], off
	global_wb scope:SCOPE_SYS
	s_wait_storecnt 0x0
	s_wait_xcnt 0x0
	global_atomic_cmpswap_b64 v[4:5], v12, v[14:17], s[8:9] offset:32 th:TH_ATOMIC_RETURN scope:SCOPE_SYS
	s_wait_loadcnt 0x0
	v_cmpx_ne_u64_e64 v[4:5], v[16:17]
	s_cbranch_execz .LBB2_336
; %bb.334:
	s_mov_b32 s13, 0
.LBB2_335:                              ; =>This Inner Loop Header: Depth=1
	v_dual_mov_b32 v2, s10 :: v_dual_mov_b32 v3, s11
	s_sleep 1
	global_store_b64 v[6:7], v[4:5], off
	global_wb scope:SCOPE_SYS
	s_wait_storecnt 0x0
	s_wait_xcnt 0x0
	global_atomic_cmpswap_b64 v[2:3], v12, v[2:5], s[8:9] offset:32 th:TH_ATOMIC_RETURN scope:SCOPE_SYS
	s_wait_loadcnt 0x0
	v_cmp_eq_u64_e32 vcc_lo, v[2:3], v[4:5]
	v_mov_b64_e32 v[4:5], v[2:3]
	s_or_b32 s13, vcc_lo, s13
	s_delay_alu instid0(SALU_CYCLE_1)
	s_and_not1_b32 exec_lo, exec_lo, s13
	s_cbranch_execnz .LBB2_335
.LBB2_336:
	s_or_b32 exec_lo, exec_lo, s12
	v_mov_b32_e32 v5, 0
	s_mov_b32 s13, exec_lo
	s_mov_b32 s12, exec_lo
	v_mbcnt_lo_u32_b32 v4, s13, 0
	global_load_b64 v[2:3], v5, s[8:9] offset:16
	s_wait_xcnt 0x0
	v_cmpx_eq_u32_e32 0, v4
	s_cbranch_execz .LBB2_338
; %bb.337:
	s_bcnt1_i32_b32 s13, s13
	s_delay_alu instid0(SALU_CYCLE_1)
	v_mov_b32_e32 v4, s13
	global_wb scope:SCOPE_SYS
	s_wait_loadcnt 0x0
	s_wait_storecnt 0x0
	global_atomic_add_u64 v[2:3], v[4:5], off offset:8 scope:SCOPE_SYS
.LBB2_338:
	s_wait_xcnt 0x0
	s_or_b32 exec_lo, exec_lo, s12
	s_wait_loadcnt 0x0
	global_load_b64 v[4:5], v[2:3], off offset:16
	s_wait_loadcnt 0x0
	v_cmp_eq_u64_e32 vcc_lo, 0, v[4:5]
	s_cbranch_vccnz .LBB2_340
; %bb.339:
	global_load_b32 v2, v[2:3], off offset:24
	s_wait_xcnt 0x0
	v_mov_b32_e32 v3, 0
	s_wait_loadcnt 0x0
	v_readfirstlane_b32 s12, v2
	global_wb scope:SCOPE_SYS
	s_wait_storecnt 0x0
	global_store_b64 v[4:5], v[2:3], off scope:SCOPE_SYS
	s_and_b32 m0, s12, 0xffffff
	s_sendmsg sendmsg(MSG_INTERRUPT)
.LBB2_340:
	s_wait_xcnt 0x0
	s_or_b32 exec_lo, exec_lo, s3
	v_add_nc_u64_e32 v[2:3], v[8:9], v[0:1]
	s_branch .LBB2_344
.LBB2_341:                              ;   in Loop: Header=BB2_344 Depth=1
	s_wait_xcnt 0x0
	s_or_b32 exec_lo, exec_lo, s3
	s_delay_alu instid0(VALU_DEP_1)
	v_readfirstlane_b32 s3, v1
	s_cmp_eq_u32 s3, 0
	s_cbranch_scc1 .LBB2_343
; %bb.342:                              ;   in Loop: Header=BB2_344 Depth=1
	s_sleep 1
	s_cbranch_execnz .LBB2_344
	s_branch .LBB2_346
.LBB2_343:
	s_branch .LBB2_346
.LBB2_344:                              ; =>This Inner Loop Header: Depth=1
	v_mov_b32_e32 v1, 1
	s_and_saveexec_b32 s3, s2
	s_cbranch_execz .LBB2_341
; %bb.345:                              ;   in Loop: Header=BB2_344 Depth=1
	global_load_b32 v1, v[10:11], off offset:20 scope:SCOPE_SYS
	s_wait_loadcnt 0x0
	global_inv scope:SCOPE_SYS
	v_and_b32_e32 v1, 1, v1
	s_branch .LBB2_341
.LBB2_346:
	global_load_b64 v[4:5], v[2:3], off
	s_wait_xcnt 0x0
	s_and_saveexec_b32 s12, s2
	s_cbranch_execz .LBB2_350
; %bb.347:
	v_mov_b32_e32 v1, 0
	s_clause 0x2
	global_load_b64 v[2:3], v1, s[8:9] offset:40
	global_load_b64 v[10:11], v1, s[8:9] offset:24 scope:SCOPE_SYS
	global_load_b64 v[6:7], v1, s[8:9]
	s_wait_loadcnt 0x2
	v_readfirstlane_b32 s14, v2
	v_readfirstlane_b32 s15, v3
	s_add_nc_u64 s[2:3], s[14:15], 1
	s_delay_alu instid0(SALU_CYCLE_1) | instskip(NEXT) | instid1(SALU_CYCLE_1)
	s_add_nc_u64 s[10:11], s[2:3], s[10:11]
	s_cmp_eq_u64 s[10:11], 0
	s_cselect_b32 s3, s3, s11
	s_cselect_b32 s2, s2, s10
	v_mov_b32_e32 v9, s3
	s_and_b64 s[10:11], s[2:3], s[14:15]
	v_mov_b32_e32 v8, s2
	s_mul_u64 s[10:11], s[10:11], 24
	s_wait_loadcnt 0x0
	v_add_nc_u64_e32 v[2:3], s[10:11], v[6:7]
	global_store_b64 v[2:3], v[10:11], off
	global_wb scope:SCOPE_SYS
	s_wait_storecnt 0x0
	s_wait_xcnt 0x0
	global_atomic_cmpswap_b64 v[8:9], v1, v[8:11], s[8:9] offset:24 th:TH_ATOMIC_RETURN scope:SCOPE_SYS
	s_wait_loadcnt 0x0
	v_cmp_ne_u64_e32 vcc_lo, v[8:9], v[10:11]
	s_and_b32 exec_lo, exec_lo, vcc_lo
	s_cbranch_execz .LBB2_350
; %bb.348:
	s_mov_b32 s10, 0
.LBB2_349:                              ; =>This Inner Loop Header: Depth=1
	v_dual_mov_b32 v6, s2 :: v_dual_mov_b32 v7, s3
	s_sleep 1
	global_store_b64 v[2:3], v[8:9], off
	global_wb scope:SCOPE_SYS
	s_wait_storecnt 0x0
	s_wait_xcnt 0x0
	global_atomic_cmpswap_b64 v[6:7], v1, v[6:9], s[8:9] offset:24 th:TH_ATOMIC_RETURN scope:SCOPE_SYS
	s_wait_loadcnt 0x0
	v_cmp_eq_u64_e32 vcc_lo, v[6:7], v[8:9]
	v_mov_b64_e32 v[8:9], v[6:7]
	s_or_b32 s10, vcc_lo, s10
	s_delay_alu instid0(SALU_CYCLE_1)
	s_and_not1_b32 exec_lo, exec_lo, s10
	s_cbranch_execnz .LBB2_349
.LBB2_350:
	s_or_b32 exec_lo, exec_lo, s12
.LBB2_351:
	v_readfirstlane_b32 s2, v29
	s_wait_loadcnt 0x0
	v_mov_b64_e32 v[2:3], 0
	s_delay_alu instid0(VALU_DEP_2)
	v_cmp_eq_u32_e64 s2, s2, v29
	s_and_saveexec_b32 s3, s2
	s_cbranch_execz .LBB2_357
; %bb.352:
	v_mov_b32_e32 v1, 0
	s_mov_b32 s10, exec_lo
	global_load_b64 v[8:9], v1, s[8:9] offset:24 scope:SCOPE_SYS
	s_wait_loadcnt 0x0
	global_inv scope:SCOPE_SYS
	s_clause 0x1
	global_load_b64 v[2:3], v1, s[8:9] offset:40
	global_load_b64 v[6:7], v1, s[8:9]
	s_wait_loadcnt 0x1
	v_and_b32_e32 v2, v2, v8
	v_and_b32_e32 v3, v3, v9
	s_delay_alu instid0(VALU_DEP_1) | instskip(SKIP_1) | instid1(VALU_DEP_1)
	v_mul_u64_e32 v[2:3], 24, v[2:3]
	s_wait_loadcnt 0x0
	v_add_nc_u64_e32 v[2:3], v[6:7], v[2:3]
	global_load_b64 v[6:7], v[2:3], off scope:SCOPE_SYS
	s_wait_xcnt 0x0
	s_wait_loadcnt 0x0
	global_atomic_cmpswap_b64 v[2:3], v1, v[6:9], s[8:9] offset:24 th:TH_ATOMIC_RETURN scope:SCOPE_SYS
	s_wait_loadcnt 0x0
	global_inv scope:SCOPE_SYS
	s_wait_xcnt 0x0
	v_cmpx_ne_u64_e64 v[2:3], v[8:9]
	s_cbranch_execz .LBB2_356
; %bb.353:
	s_mov_b32 s11, 0
.LBB2_354:                              ; =>This Inner Loop Header: Depth=1
	s_sleep 1
	s_clause 0x1
	global_load_b64 v[6:7], v1, s[8:9] offset:40
	global_load_b64 v[10:11], v1, s[8:9]
	v_mov_b64_e32 v[8:9], v[2:3]
	s_wait_loadcnt 0x1
	s_delay_alu instid0(VALU_DEP_1) | instskip(NEXT) | instid1(VALU_DEP_2)
	v_and_b32_e32 v2, v6, v8
	v_and_b32_e32 v6, v7, v9
	s_wait_loadcnt 0x0
	s_delay_alu instid0(VALU_DEP_2) | instskip(NEXT) | instid1(VALU_DEP_1)
	v_mad_nc_u64_u32 v[2:3], v2, 24, v[10:11]
	v_mad_u32 v3, v6, 24, v3
	global_load_b64 v[6:7], v[2:3], off scope:SCOPE_SYS
	s_wait_xcnt 0x0
	s_wait_loadcnt 0x0
	global_atomic_cmpswap_b64 v[2:3], v1, v[6:9], s[8:9] offset:24 th:TH_ATOMIC_RETURN scope:SCOPE_SYS
	s_wait_loadcnt 0x0
	global_inv scope:SCOPE_SYS
	v_cmp_eq_u64_e32 vcc_lo, v[2:3], v[8:9]
	s_or_b32 s11, vcc_lo, s11
	s_wait_xcnt 0x0
	s_and_not1_b32 exec_lo, exec_lo, s11
	s_cbranch_execnz .LBB2_354
; %bb.355:
	s_or_b32 exec_lo, exec_lo, s11
.LBB2_356:
	s_delay_alu instid0(SALU_CYCLE_1)
	s_or_b32 exec_lo, exec_lo, s10
.LBB2_357:
	s_delay_alu instid0(SALU_CYCLE_1)
	s_or_b32 exec_lo, exec_lo, s3
	v_readfirstlane_b32 s10, v2
	v_mov_b32_e32 v1, 0
	v_readfirstlane_b32 s11, v3
	s_mov_b32 s3, exec_lo
	s_clause 0x1
	global_load_b64 v[6:7], v1, s[8:9] offset:40
	global_load_b128 v[8:11], v1, s[8:9]
	s_wait_loadcnt 0x1
	v_and_b32_e32 v2, s10, v6
	v_and_b32_e32 v3, s11, v7
	s_delay_alu instid0(VALU_DEP_1) | instskip(SKIP_1) | instid1(VALU_DEP_1)
	v_mul_u64_e32 v[6:7], 24, v[2:3]
	s_wait_loadcnt 0x0
	v_add_nc_u64_e32 v[12:13], v[8:9], v[6:7]
	s_wait_xcnt 0x0
	s_and_saveexec_b32 s12, s2
	s_cbranch_execz .LBB2_359
; %bb.358:
	v_mov_b64_e32 v[16:17], 0x100000002
	v_dual_mov_b32 v14, s3 :: v_dual_mov_b32 v15, v1
	global_store_b128 v[12:13], v[14:17], off offset:8
.LBB2_359:
	s_wait_xcnt 0x0
	s_or_b32 exec_lo, exec_lo, s12
	v_lshlrev_b64_e32 v[2:3], 12, v[2:3]
	s_mov_b32 s12, 0
	s_lshr_b32 s3, s22, 1
	s_mov_b32 s14, s12
	s_mov_b32 s15, s12
	;; [unrolled: 1-line block ×3, first 2 shown]
	v_mov_b64_e32 v[16:17], s[14:15]
	v_add_nc_u64_e32 v[10:11], v[10:11], v[2:3]
	v_mov_b64_e32 v[14:15], s[12:13]
	v_and_or_b32 v4, 0xffffff1f, v4, 32
	v_dual_mov_b32 v7, v1 :: v_dual_mov_b32 v6, s3
	s_delay_alu instid0(VALU_DEP_4)
	v_readfirstlane_b32 s16, v10
	v_readfirstlane_b32 s17, v11
	s_clause 0x3
	global_store_b128 v0, v[4:7], s[16:17]
	global_store_b128 v0, v[14:17], s[16:17] offset:16
	global_store_b128 v0, v[14:17], s[16:17] offset:32
	;; [unrolled: 1-line block ×3, first 2 shown]
	s_wait_xcnt 0x0
	s_and_saveexec_b32 s3, s2
	s_cbranch_execz .LBB2_367
; %bb.360:
	v_dual_mov_b32 v14, 0 :: v_dual_mov_b32 v17, s11
	s_mov_b32 s12, exec_lo
	s_clause 0x1
	global_load_b64 v[18:19], v14, s[8:9] offset:32 scope:SCOPE_SYS
	global_load_b64 v[2:3], v14, s[8:9] offset:40
	s_wait_loadcnt 0x0
	v_dual_mov_b32 v16, s10 :: v_dual_bitop2_b32 v3, s11, v3 bitop3:0x40
	v_and_b32_e32 v2, s10, v2
	s_delay_alu instid0(VALU_DEP_1) | instskip(NEXT) | instid1(VALU_DEP_1)
	v_mul_u64_e32 v[2:3], 24, v[2:3]
	v_add_nc_u64_e32 v[6:7], v[8:9], v[2:3]
	global_store_b64 v[6:7], v[18:19], off
	global_wb scope:SCOPE_SYS
	s_wait_storecnt 0x0
	s_wait_xcnt 0x0
	global_atomic_cmpswap_b64 v[4:5], v14, v[16:19], s[8:9] offset:32 th:TH_ATOMIC_RETURN scope:SCOPE_SYS
	s_wait_loadcnt 0x0
	v_cmpx_ne_u64_e64 v[4:5], v[18:19]
	s_cbranch_execz .LBB2_363
; %bb.361:
	s_mov_b32 s13, 0
.LBB2_362:                              ; =>This Inner Loop Header: Depth=1
	v_dual_mov_b32 v2, s10 :: v_dual_mov_b32 v3, s11
	s_sleep 1
	global_store_b64 v[6:7], v[4:5], off
	global_wb scope:SCOPE_SYS
	s_wait_storecnt 0x0
	s_wait_xcnt 0x0
	global_atomic_cmpswap_b64 v[2:3], v14, v[2:5], s[8:9] offset:32 th:TH_ATOMIC_RETURN scope:SCOPE_SYS
	s_wait_loadcnt 0x0
	v_cmp_eq_u64_e32 vcc_lo, v[2:3], v[4:5]
	v_mov_b64_e32 v[4:5], v[2:3]
	s_or_b32 s13, vcc_lo, s13
	s_delay_alu instid0(SALU_CYCLE_1)
	s_and_not1_b32 exec_lo, exec_lo, s13
	s_cbranch_execnz .LBB2_362
.LBB2_363:
	s_or_b32 exec_lo, exec_lo, s12
	v_mov_b32_e32 v5, 0
	s_mov_b32 s13, exec_lo
	s_mov_b32 s12, exec_lo
	v_mbcnt_lo_u32_b32 v4, s13, 0
	global_load_b64 v[2:3], v5, s[8:9] offset:16
	s_wait_xcnt 0x0
	v_cmpx_eq_u32_e32 0, v4
	s_cbranch_execz .LBB2_365
; %bb.364:
	s_bcnt1_i32_b32 s13, s13
	s_delay_alu instid0(SALU_CYCLE_1)
	v_mov_b32_e32 v4, s13
	global_wb scope:SCOPE_SYS
	s_wait_loadcnt 0x0
	s_wait_storecnt 0x0
	global_atomic_add_u64 v[2:3], v[4:5], off offset:8 scope:SCOPE_SYS
.LBB2_365:
	s_wait_xcnt 0x0
	s_or_b32 exec_lo, exec_lo, s12
	s_wait_loadcnt 0x0
	global_load_b64 v[4:5], v[2:3], off offset:16
	s_wait_loadcnt 0x0
	v_cmp_eq_u64_e32 vcc_lo, 0, v[4:5]
	s_cbranch_vccnz .LBB2_367
; %bb.366:
	global_load_b32 v2, v[2:3], off offset:24
	s_wait_xcnt 0x0
	v_mov_b32_e32 v3, 0
	s_wait_loadcnt 0x0
	v_readfirstlane_b32 s12, v2
	global_wb scope:SCOPE_SYS
	s_wait_storecnt 0x0
	global_store_b64 v[4:5], v[2:3], off scope:SCOPE_SYS
	s_and_b32 m0, s12, 0xffffff
	s_sendmsg sendmsg(MSG_INTERRUPT)
.LBB2_367:
	s_wait_xcnt 0x0
	s_or_b32 exec_lo, exec_lo, s3
	v_add_nc_u64_e32 v[2:3], v[10:11], v[0:1]
	s_branch .LBB2_371
.LBB2_368:                              ;   in Loop: Header=BB2_371 Depth=1
	s_wait_xcnt 0x0
	s_or_b32 exec_lo, exec_lo, s3
	s_delay_alu instid0(VALU_DEP_1)
	v_readfirstlane_b32 s3, v1
	s_cmp_eq_u32 s3, 0
	s_cbranch_scc1 .LBB2_370
; %bb.369:                              ;   in Loop: Header=BB2_371 Depth=1
	s_sleep 1
	s_cbranch_execnz .LBB2_371
	s_branch .LBB2_373
.LBB2_370:
	s_branch .LBB2_373
.LBB2_371:                              ; =>This Inner Loop Header: Depth=1
	v_mov_b32_e32 v1, 1
	s_and_saveexec_b32 s3, s2
	s_cbranch_execz .LBB2_368
; %bb.372:                              ;   in Loop: Header=BB2_371 Depth=1
	global_load_b32 v1, v[12:13], off offset:20 scope:SCOPE_SYS
	s_wait_loadcnt 0x0
	global_inv scope:SCOPE_SYS
	v_and_b32_e32 v1, 1, v1
	s_branch .LBB2_368
.LBB2_373:
	global_load_b64 v[2:3], v[2:3], off
	s_wait_xcnt 0x0
	s_and_saveexec_b32 s12, s2
	s_cbranch_execz .LBB2_377
; %bb.374:
	v_mov_b32_e32 v1, 0
	s_clause 0x2
	global_load_b64 v[4:5], v1, s[8:9] offset:40
	global_load_b64 v[12:13], v1, s[8:9] offset:24 scope:SCOPE_SYS
	global_load_b64 v[6:7], v1, s[8:9]
	s_wait_loadcnt 0x2
	v_readfirstlane_b32 s14, v4
	v_readfirstlane_b32 s15, v5
	s_add_nc_u64 s[2:3], s[14:15], 1
	s_delay_alu instid0(SALU_CYCLE_1) | instskip(NEXT) | instid1(SALU_CYCLE_1)
	s_add_nc_u64 s[10:11], s[2:3], s[10:11]
	s_cmp_eq_u64 s[10:11], 0
	s_cselect_b32 s3, s3, s11
	s_cselect_b32 s2, s2, s10
	v_mov_b32_e32 v11, s3
	s_and_b64 s[10:11], s[2:3], s[14:15]
	v_mov_b32_e32 v10, s2
	s_mul_u64 s[10:11], s[10:11], 24
	s_wait_loadcnt 0x0
	v_add_nc_u64_e32 v[8:9], s[10:11], v[6:7]
	global_store_b64 v[8:9], v[12:13], off
	global_wb scope:SCOPE_SYS
	s_wait_storecnt 0x0
	s_wait_xcnt 0x0
	global_atomic_cmpswap_b64 v[6:7], v1, v[10:13], s[8:9] offset:24 th:TH_ATOMIC_RETURN scope:SCOPE_SYS
	s_wait_loadcnt 0x0
	v_cmp_ne_u64_e32 vcc_lo, v[6:7], v[12:13]
	s_and_b32 exec_lo, exec_lo, vcc_lo
	s_cbranch_execz .LBB2_377
; %bb.375:
	s_mov_b32 s10, 0
.LBB2_376:                              ; =>This Inner Loop Header: Depth=1
	v_dual_mov_b32 v4, s2 :: v_dual_mov_b32 v5, s3
	s_sleep 1
	global_store_b64 v[8:9], v[6:7], off
	global_wb scope:SCOPE_SYS
	s_wait_storecnt 0x0
	s_wait_xcnt 0x0
	global_atomic_cmpswap_b64 v[4:5], v1, v[4:7], s[8:9] offset:24 th:TH_ATOMIC_RETURN scope:SCOPE_SYS
	s_wait_loadcnt 0x0
	v_cmp_eq_u64_e32 vcc_lo, v[4:5], v[6:7]
	v_mov_b64_e32 v[6:7], v[4:5]
	s_or_b32 s10, vcc_lo, s10
	s_delay_alu instid0(SALU_CYCLE_1)
	s_and_not1_b32 exec_lo, exec_lo, s10
	s_cbranch_execnz .LBB2_376
.LBB2_377:
	s_or_b32 exec_lo, exec_lo, s12
	v_readfirstlane_b32 s2, v29
	v_mov_b64_e32 v[10:11], 0
	s_delay_alu instid0(VALU_DEP_2)
	v_cmp_eq_u32_e64 s2, s2, v29
	s_and_saveexec_b32 s3, s2
	s_cbranch_execz .LBB2_383
; %bb.378:
	v_mov_b32_e32 v1, 0
	s_mov_b32 s10, exec_lo
	global_load_b64 v[6:7], v1, s[8:9] offset:24 scope:SCOPE_SYS
	s_wait_loadcnt 0x0
	global_inv scope:SCOPE_SYS
	s_clause 0x1
	global_load_b64 v[4:5], v1, s[8:9] offset:40
	global_load_b64 v[8:9], v1, s[8:9]
	s_wait_loadcnt 0x1
	v_and_b32_e32 v4, v4, v6
	v_and_b32_e32 v5, v5, v7
	s_delay_alu instid0(VALU_DEP_1) | instskip(SKIP_1) | instid1(VALU_DEP_1)
	v_mul_u64_e32 v[4:5], 24, v[4:5]
	s_wait_loadcnt 0x0
	v_add_nc_u64_e32 v[4:5], v[8:9], v[4:5]
	global_load_b64 v[4:5], v[4:5], off scope:SCOPE_SYS
	s_wait_xcnt 0x0
	s_wait_loadcnt 0x0
	global_atomic_cmpswap_b64 v[10:11], v1, v[4:7], s[8:9] offset:24 th:TH_ATOMIC_RETURN scope:SCOPE_SYS
	s_wait_loadcnt 0x0
	global_inv scope:SCOPE_SYS
	s_wait_xcnt 0x0
	v_cmpx_ne_u64_e64 v[10:11], v[6:7]
	s_cbranch_execz .LBB2_382
; %bb.379:
	s_mov_b32 s11, 0
.LBB2_380:                              ; =>This Inner Loop Header: Depth=1
	s_sleep 1
	s_clause 0x1
	global_load_b64 v[4:5], v1, s[8:9] offset:40
	global_load_b64 v[8:9], v1, s[8:9]
	v_mov_b64_e32 v[6:7], v[10:11]
	s_wait_loadcnt 0x1
	s_delay_alu instid0(VALU_DEP_1) | instskip(SKIP_1) | instid1(VALU_DEP_1)
	v_and_b32_e32 v4, v4, v6
	s_wait_loadcnt 0x0
	v_mad_nc_u64_u32 v[8:9], v4, 24, v[8:9]
	s_delay_alu instid0(VALU_DEP_3) | instskip(NEXT) | instid1(VALU_DEP_1)
	v_and_b32_e32 v4, v5, v7
	v_mad_u32 v9, v4, 24, v9
	global_load_b64 v[4:5], v[8:9], off scope:SCOPE_SYS
	s_wait_xcnt 0x0
	s_wait_loadcnt 0x0
	global_atomic_cmpswap_b64 v[10:11], v1, v[4:7], s[8:9] offset:24 th:TH_ATOMIC_RETURN scope:SCOPE_SYS
	s_wait_loadcnt 0x0
	global_inv scope:SCOPE_SYS
	v_cmp_eq_u64_e32 vcc_lo, v[10:11], v[6:7]
	s_or_b32 s11, vcc_lo, s11
	s_wait_xcnt 0x0
	s_and_not1_b32 exec_lo, exec_lo, s11
	s_cbranch_execnz .LBB2_380
; %bb.381:
	s_or_b32 exec_lo, exec_lo, s11
.LBB2_382:
	s_delay_alu instid0(SALU_CYCLE_1)
	s_or_b32 exec_lo, exec_lo, s10
.LBB2_383:
	s_delay_alu instid0(SALU_CYCLE_1)
	s_or_b32 exec_lo, exec_lo, s3
	v_readfirstlane_b32 s10, v10
	v_mov_b32_e32 v5, 0
	v_readfirstlane_b32 s11, v11
	s_mov_b32 s3, exec_lo
	s_clause 0x1
	global_load_b64 v[12:13], v5, s[8:9] offset:40
	global_load_b128 v[6:9], v5, s[8:9]
	s_wait_loadcnt 0x1
	v_and_b32_e32 v12, s10, v12
	v_and_b32_e32 v13, s11, v13
	s_delay_alu instid0(VALU_DEP_1) | instskip(SKIP_1) | instid1(VALU_DEP_1)
	v_mul_u64_e32 v[10:11], 24, v[12:13]
	s_wait_loadcnt 0x0
	v_add_nc_u64_e32 v[10:11], v[6:7], v[10:11]
	s_wait_xcnt 0x0
	s_and_saveexec_b32 s12, s2
	s_cbranch_execz .LBB2_385
; %bb.384:
	v_mov_b32_e32 v4, s3
	v_mov_b64_e32 v[16:17], 0x100000002
	s_delay_alu instid0(VALU_DEP_2)
	v_mov_b64_e32 v[14:15], v[4:5]
	global_store_b128 v[10:11], v[14:17], off offset:8
.LBB2_385:
	s_wait_xcnt 0x0
	s_or_b32 exec_lo, exec_lo, s12
	v_lshlrev_b64_e32 v[12:13], 12, v[12:13]
	s_mov_b32 s12, 0
	v_and_or_b32 v2, 0xffffff1d, v2, 34
	s_mov_b32 s13, s12
	s_mov_b32 s14, s12
	;; [unrolled: 1-line block ×3, first 2 shown]
	v_mov_b32_e32 v4, 2
	v_add_nc_u64_e32 v[8:9], v[8:9], v[12:13]
	v_mov_b64_e32 v[12:13], s[12:13]
	v_mov_b64_e32 v[14:15], s[14:15]
	s_delay_alu instid0(VALU_DEP_3) | instskip(NEXT) | instid1(VALU_DEP_4)
	v_readfirstlane_b32 s16, v8
	v_readfirstlane_b32 s17, v9
	s_clause 0x3
	global_store_b128 v0, v[2:5], s[16:17]
	global_store_b128 v0, v[12:15], s[16:17] offset:16
	global_store_b128 v0, v[12:15], s[16:17] offset:32
	;; [unrolled: 1-line block ×3, first 2 shown]
	s_wait_xcnt 0x0
	s_and_saveexec_b32 s3, s2
	s_cbranch_execz .LBB2_393
; %bb.386:
	v_dual_mov_b32 v8, 0 :: v_dual_mov_b32 v13, s11
	s_mov_b32 s12, exec_lo
	s_clause 0x1
	global_load_b64 v[14:15], v8, s[8:9] offset:32 scope:SCOPE_SYS
	global_load_b64 v[0:1], v8, s[8:9] offset:40
	s_wait_loadcnt 0x0
	v_dual_mov_b32 v12, s10 :: v_dual_bitop2_b32 v1, s11, v1 bitop3:0x40
	v_and_b32_e32 v0, s10, v0
	s_delay_alu instid0(VALU_DEP_1) | instskip(NEXT) | instid1(VALU_DEP_1)
	v_mul_u64_e32 v[0:1], 24, v[0:1]
	v_add_nc_u64_e32 v[4:5], v[6:7], v[0:1]
	global_store_b64 v[4:5], v[14:15], off
	global_wb scope:SCOPE_SYS
	s_wait_storecnt 0x0
	s_wait_xcnt 0x0
	global_atomic_cmpswap_b64 v[2:3], v8, v[12:15], s[8:9] offset:32 th:TH_ATOMIC_RETURN scope:SCOPE_SYS
	s_wait_loadcnt 0x0
	v_cmpx_ne_u64_e64 v[2:3], v[14:15]
	s_cbranch_execz .LBB2_389
; %bb.387:
	s_mov_b32 s13, 0
.LBB2_388:                              ; =>This Inner Loop Header: Depth=1
	v_dual_mov_b32 v0, s10 :: v_dual_mov_b32 v1, s11
	s_sleep 1
	global_store_b64 v[4:5], v[2:3], off
	global_wb scope:SCOPE_SYS
	s_wait_storecnt 0x0
	s_wait_xcnt 0x0
	global_atomic_cmpswap_b64 v[0:1], v8, v[0:3], s[8:9] offset:32 th:TH_ATOMIC_RETURN scope:SCOPE_SYS
	s_wait_loadcnt 0x0
	v_cmp_eq_u64_e32 vcc_lo, v[0:1], v[2:3]
	v_mov_b64_e32 v[2:3], v[0:1]
	s_or_b32 s13, vcc_lo, s13
	s_delay_alu instid0(SALU_CYCLE_1)
	s_and_not1_b32 exec_lo, exec_lo, s13
	s_cbranch_execnz .LBB2_388
.LBB2_389:
	s_or_b32 exec_lo, exec_lo, s12
	v_mov_b32_e32 v3, 0
	s_mov_b32 s13, exec_lo
	s_mov_b32 s12, exec_lo
	v_mbcnt_lo_u32_b32 v2, s13, 0
	global_load_b64 v[0:1], v3, s[8:9] offset:16
	s_wait_xcnt 0x0
	v_cmpx_eq_u32_e32 0, v2
	s_cbranch_execz .LBB2_391
; %bb.390:
	s_bcnt1_i32_b32 s13, s13
	s_delay_alu instid0(SALU_CYCLE_1)
	v_mov_b32_e32 v2, s13
	global_wb scope:SCOPE_SYS
	s_wait_loadcnt 0x0
	s_wait_storecnt 0x0
	global_atomic_add_u64 v[0:1], v[2:3], off offset:8 scope:SCOPE_SYS
.LBB2_391:
	s_wait_xcnt 0x0
	s_or_b32 exec_lo, exec_lo, s12
	s_wait_loadcnt 0x0
	global_load_b64 v[2:3], v[0:1], off offset:16
	s_wait_loadcnt 0x0
	v_cmp_eq_u64_e32 vcc_lo, 0, v[2:3]
	s_cbranch_vccnz .LBB2_393
; %bb.392:
	global_load_b32 v0, v[0:1], off offset:24
	s_wait_xcnt 0x0
	v_mov_b32_e32 v1, 0
	s_wait_loadcnt 0x0
	v_readfirstlane_b32 s12, v0
	global_wb scope:SCOPE_SYS
	s_wait_storecnt 0x0
	global_store_b64 v[2:3], v[0:1], off scope:SCOPE_SYS
	s_and_b32 m0, s12, 0xffffff
	s_sendmsg sendmsg(MSG_INTERRUPT)
.LBB2_393:
	s_wait_xcnt 0x0
	s_or_b32 exec_lo, exec_lo, s3
	s_branch .LBB2_397
.LBB2_394:                              ;   in Loop: Header=BB2_397 Depth=1
	s_wait_xcnt 0x0
	s_or_b32 exec_lo, exec_lo, s3
	s_delay_alu instid0(VALU_DEP_1)
	v_readfirstlane_b32 s3, v0
	s_cmp_eq_u32 s3, 0
	s_cbranch_scc1 .LBB2_396
; %bb.395:                              ;   in Loop: Header=BB2_397 Depth=1
	s_sleep 1
	s_cbranch_execnz .LBB2_397
	s_branch .LBB2_399
.LBB2_396:
	s_branch .LBB2_399
.LBB2_397:                              ; =>This Inner Loop Header: Depth=1
	v_mov_b32_e32 v0, 1
	s_and_saveexec_b32 s3, s2
	s_cbranch_execz .LBB2_394
; %bb.398:                              ;   in Loop: Header=BB2_397 Depth=1
	global_load_b32 v0, v[10:11], off offset:20 scope:SCOPE_SYS
	s_wait_loadcnt 0x0
	global_inv scope:SCOPE_SYS
	v_and_b32_e32 v0, 1, v0
	s_branch .LBB2_394
.LBB2_399:
	s_and_b32 exec_lo, exec_lo, s2
	s_cbranch_execz .LBB2_403
; %bb.400:
	v_mov_b32_e32 v6, 0
	s_clause 0x2
	global_load_b64 v[0:1], v6, s[8:9] offset:40
	global_load_b64 v[10:11], v6, s[8:9] offset:24 scope:SCOPE_SYS
	global_load_b64 v[2:3], v6, s[8:9]
	s_wait_loadcnt 0x2
	v_readfirstlane_b32 s12, v0
	v_readfirstlane_b32 s13, v1
	s_add_nc_u64 s[2:3], s[12:13], 1
	s_delay_alu instid0(SALU_CYCLE_1) | instskip(NEXT) | instid1(SALU_CYCLE_1)
	s_add_nc_u64 s[10:11], s[2:3], s[10:11]
	s_cmp_eq_u64 s[10:11], 0
	s_cselect_b32 s3, s3, s11
	s_cselect_b32 s2, s2, s10
	v_mov_b32_e32 v9, s3
	s_and_b64 s[10:11], s[2:3], s[12:13]
	v_mov_b32_e32 v8, s2
	s_mul_u64 s[10:11], s[10:11], 24
	s_wait_loadcnt 0x0
	v_add_nc_u64_e32 v[4:5], s[10:11], v[2:3]
	global_store_b64 v[4:5], v[10:11], off
	global_wb scope:SCOPE_SYS
	s_wait_storecnt 0x0
	s_wait_xcnt 0x0
	global_atomic_cmpswap_b64 v[2:3], v6, v[8:11], s[8:9] offset:24 th:TH_ATOMIC_RETURN scope:SCOPE_SYS
	s_wait_loadcnt 0x0
	v_cmp_ne_u64_e32 vcc_lo, v[2:3], v[10:11]
	s_and_b32 exec_lo, exec_lo, vcc_lo
	s_cbranch_execz .LBB2_403
; %bb.401:
	s_mov_b32 s10, 0
.LBB2_402:                              ; =>This Inner Loop Header: Depth=1
	v_dual_mov_b32 v0, s2 :: v_dual_mov_b32 v1, s3
	s_sleep 1
	global_store_b64 v[4:5], v[2:3], off
	global_wb scope:SCOPE_SYS
	s_wait_storecnt 0x0
	s_wait_xcnt 0x0
	global_atomic_cmpswap_b64 v[0:1], v6, v[0:3], s[8:9] offset:24 th:TH_ATOMIC_RETURN scope:SCOPE_SYS
	s_wait_loadcnt 0x0
	v_cmp_eq_u64_e32 vcc_lo, v[0:1], v[2:3]
	v_mov_b64_e32 v[2:3], v[0:1]
	s_or_b32 s10, vcc_lo, s10
	s_delay_alu instid0(SALU_CYCLE_1)
	s_and_not1_b32 exec_lo, exec_lo, s10
	s_cbranch_execnz .LBB2_402
.LBB2_403:
	s_or_b32 exec_lo, exec_lo, s23
	v_dual_mov_b32 v3, 0 :: v_dual_bitop2_b32 v0, -2, v32 bitop3:0x40
	v_and_b32_e32 v6, 1, v32
	s_wait_loadcnt 0x0
	s_wait_storecnt 0x0
	s_barrier_signal -1
	v_ashrrev_i32_e32 v1, 31, v0
	s_barrier_wait -1
	v_lshlrev_b32_e32 v2, 2, v6
	s_delay_alu instid0(VALU_DEP_2) | instskip(NEXT) | instid1(VALU_DEP_1)
	v_lshl_add_u64 v[0:1], v[0:1], 2, s[4:5]
	v_add_nc_u64_e32 v[4:5], v[0:1], v[2:3]
	v_mov_b32_e32 v2, -1
	v_cmp_eq_u32_e32 vcc_lo, 0, v6
	flat_store_b32 v[4:5], v32
	global_wb scope:SCOPE_DEV
	s_wait_storecnt_dscnt 0x0
	global_inv scope:SCOPE_DEV
	s_wait_xcnt 0x0
	s_and_saveexec_b32 s2, vcc_lo
	s_cbranch_execnz .LBB2_406
; %bb.404:
	s_or_b32 exec_lo, exec_lo, s2
	global_wb scope:SCOPE_DEV
	s_wait_loadcnt 0x0
	s_wait_storecnt 0x0
	global_inv scope:SCOPE_DEV
	s_and_saveexec_b32 s2, vcc_lo
	s_cbranch_execnz .LBB2_407
.LBB2_405:
	s_endpgm
.LBB2_406:
	flat_load_b32 v0, v[0:1] offset:4
	s_wait_loadcnt_dscnt 0x0
	v_add_nc_u32_e32 v2, v0, v32
	s_or_b32 exec_lo, exec_lo, s2
	global_wb scope:SCOPE_DEV
	s_wait_storecnt 0x0
	global_inv scope:SCOPE_DEV
	s_and_saveexec_b32 s2, vcc_lo
	s_cbranch_execz .LBB2_405
.LBB2_407:
	s_load_b64 s[4:5], s[6:7], 0x50
	v_mbcnt_lo_u32_b32 v33, -1, 0
	v_mov_b64_e32 v[0:1], 0
	s_delay_alu instid0(VALU_DEP_2) | instskip(NEXT) | instid1(VALU_DEP_1)
	v_readfirstlane_b32 s2, v33
	v_cmp_eq_u32_e64 s2, s2, v33
	s_and_saveexec_b32 s3, s2
	s_cbranch_execz .LBB2_413
; %bb.408:
	v_mov_b32_e32 v3, 0
	s_wait_xcnt 0x0
	s_mov_b32 s6, exec_lo
	s_wait_kmcnt 0x0
	global_load_b64 v[6:7], v3, s[4:5] offset:24 scope:SCOPE_SYS
	s_wait_loadcnt 0x0
	global_inv scope:SCOPE_SYS
	s_clause 0x1
	global_load_b64 v[0:1], v3, s[4:5] offset:40
	global_load_b64 v[4:5], v3, s[4:5]
	s_wait_loadcnt 0x1
	v_and_b32_e32 v0, v0, v6
	v_and_b32_e32 v1, v1, v7
	s_delay_alu instid0(VALU_DEP_1) | instskip(SKIP_1) | instid1(VALU_DEP_1)
	v_mul_u64_e32 v[0:1], 24, v[0:1]
	s_wait_loadcnt 0x0
	v_add_nc_u64_e32 v[0:1], v[4:5], v[0:1]
	global_load_b64 v[4:5], v[0:1], off scope:SCOPE_SYS
	s_wait_xcnt 0x0
	s_wait_loadcnt 0x0
	global_atomic_cmpswap_b64 v[0:1], v3, v[4:7], s[4:5] offset:24 th:TH_ATOMIC_RETURN scope:SCOPE_SYS
	s_wait_loadcnt 0x0
	global_inv scope:SCOPE_SYS
	s_wait_xcnt 0x0
	v_cmpx_ne_u64_e64 v[0:1], v[6:7]
	s_cbranch_execz .LBB2_412
; %bb.409:
	s_mov_b32 s7, 0
.LBB2_410:                              ; =>This Inner Loop Header: Depth=1
	s_sleep 1
	s_clause 0x1
	global_load_b64 v[4:5], v3, s[4:5] offset:40
	global_load_b64 v[8:9], v3, s[4:5]
	v_mov_b64_e32 v[6:7], v[0:1]
	s_wait_loadcnt 0x1
	s_delay_alu instid0(VALU_DEP_1) | instskip(NEXT) | instid1(VALU_DEP_2)
	v_and_b32_e32 v0, v4, v6
	v_and_b32_e32 v4, v5, v7
	s_wait_loadcnt 0x0
	s_delay_alu instid0(VALU_DEP_2) | instskip(NEXT) | instid1(VALU_DEP_1)
	v_mad_nc_u64_u32 v[0:1], v0, 24, v[8:9]
	v_mad_u32 v1, v4, 24, v1
	global_load_b64 v[4:5], v[0:1], off scope:SCOPE_SYS
	s_wait_xcnt 0x0
	s_wait_loadcnt 0x0
	global_atomic_cmpswap_b64 v[0:1], v3, v[4:7], s[4:5] offset:24 th:TH_ATOMIC_RETURN scope:SCOPE_SYS
	s_wait_loadcnt 0x0
	global_inv scope:SCOPE_SYS
	v_cmp_eq_u64_e32 vcc_lo, v[0:1], v[6:7]
	s_or_b32 s7, vcc_lo, s7
	s_wait_xcnt 0x0
	s_and_not1_b32 exec_lo, exec_lo, s7
	s_cbranch_execnz .LBB2_410
; %bb.411:
	s_or_b32 exec_lo, exec_lo, s7
.LBB2_412:
	s_delay_alu instid0(SALU_CYCLE_1)
	s_or_b32 exec_lo, exec_lo, s6
.LBB2_413:
	s_delay_alu instid0(SALU_CYCLE_1)
	s_or_b32 exec_lo, exec_lo, s3
	s_wait_xcnt 0x0
	v_readfirstlane_b32 s6, v0
	v_mov_b32_e32 v5, 0
	v_readfirstlane_b32 s7, v1
	s_mov_b32 s3, exec_lo
	s_wait_kmcnt 0x0
	s_clause 0x1
	global_load_b64 v[6:7], v5, s[4:5] offset:40
	global_load_b128 v[8:11], v5, s[4:5]
	s_wait_loadcnt 0x1
	v_and_b32_e32 v12, s6, v6
	v_and_b32_e32 v13, s7, v7
	s_delay_alu instid0(VALU_DEP_1) | instskip(SKIP_1) | instid1(VALU_DEP_1)
	v_mul_u64_e32 v[0:1], 24, v[12:13]
	s_wait_loadcnt 0x0
	v_add_nc_u64_e32 v[0:1], v[8:9], v[0:1]
	s_and_saveexec_b32 s8, s2
	s_cbranch_execz .LBB2_415
; %bb.414:
	v_mov_b64_e32 v[6:7], 0x100000002
	v_mov_b32_e32 v4, s3
	global_store_b128 v[0:1], v[4:7], off offset:8
.LBB2_415:
	s_wait_xcnt 0x0
	s_or_b32 exec_lo, exec_lo, s8
	v_lshlrev_b64_e32 v[6:7], 12, v[12:13]
	s_mov_b32 s8, 0
	v_dual_lshlrev_b32 v4, 6, v33 :: v_dual_mov_b32 v12, 33
	s_mov_b32 s10, s8
	s_mov_b32 s11, s8
	;; [unrolled: 1-line block ×3, first 2 shown]
	s_delay_alu instid0(VALU_DEP_2)
	v_add_nc_u64_e32 v[10:11], v[10:11], v[6:7]
	v_mov_b64_e32 v[18:19], s[10:11]
	v_mov_b64_e32 v[16:17], s[8:9]
	v_dual_mov_b32 v13, v5 :: v_dual_mov_b32 v14, v5
	v_mov_b32_e32 v15, v5
	v_readfirstlane_b32 s12, v10
	v_readfirstlane_b32 s13, v11
	s_clause 0x3
	global_store_b128 v4, v[12:15], s[12:13]
	global_store_b128 v4, v[16:19], s[12:13] offset:16
	global_store_b128 v4, v[16:19], s[12:13] offset:32
	;; [unrolled: 1-line block ×3, first 2 shown]
	s_wait_xcnt 0x0
	s_and_saveexec_b32 s3, s2
	s_cbranch_execz .LBB2_423
; %bb.416:
	v_dual_mov_b32 v3, 0 :: v_dual_mov_b32 v15, s7
	s_mov_b32 s8, exec_lo
	s_clause 0x1
	global_load_b64 v[16:17], v3, s[4:5] offset:32 scope:SCOPE_SYS
	global_load_b64 v[6:7], v3, s[4:5] offset:40
	s_wait_loadcnt 0x0
	v_dual_mov_b32 v14, s6 :: v_dual_bitop2_b32 v7, s7, v7 bitop3:0x40
	v_and_b32_e32 v6, s6, v6
	s_delay_alu instid0(VALU_DEP_1) | instskip(NEXT) | instid1(VALU_DEP_1)
	v_mul_u64_e32 v[6:7], 24, v[6:7]
	v_add_nc_u64_e32 v[12:13], v[8:9], v[6:7]
	global_store_b64 v[12:13], v[16:17], off
	global_wb scope:SCOPE_SYS
	s_wait_storecnt 0x0
	s_wait_xcnt 0x0
	global_atomic_cmpswap_b64 v[8:9], v3, v[14:17], s[4:5] offset:32 th:TH_ATOMIC_RETURN scope:SCOPE_SYS
	s_wait_loadcnt 0x0
	v_cmpx_ne_u64_e64 v[8:9], v[16:17]
	s_cbranch_execz .LBB2_419
; %bb.417:
	s_mov_b32 s9, 0
.LBB2_418:                              ; =>This Inner Loop Header: Depth=1
	v_dual_mov_b32 v6, s6 :: v_dual_mov_b32 v7, s7
	s_sleep 1
	global_store_b64 v[12:13], v[8:9], off
	global_wb scope:SCOPE_SYS
	s_wait_storecnt 0x0
	s_wait_xcnt 0x0
	global_atomic_cmpswap_b64 v[6:7], v3, v[6:9], s[4:5] offset:32 th:TH_ATOMIC_RETURN scope:SCOPE_SYS
	s_wait_loadcnt 0x0
	v_cmp_eq_u64_e32 vcc_lo, v[6:7], v[8:9]
	v_mov_b64_e32 v[8:9], v[6:7]
	s_or_b32 s9, vcc_lo, s9
	s_delay_alu instid0(SALU_CYCLE_1)
	s_and_not1_b32 exec_lo, exec_lo, s9
	s_cbranch_execnz .LBB2_418
.LBB2_419:
	s_or_b32 exec_lo, exec_lo, s8
	v_mov_b32_e32 v9, 0
	s_mov_b32 s9, exec_lo
	s_mov_b32 s8, exec_lo
	v_mbcnt_lo_u32_b32 v3, s9, 0
	global_load_b64 v[6:7], v9, s[4:5] offset:16
	s_wait_xcnt 0x0
	v_cmpx_eq_u32_e32 0, v3
	s_cbranch_execz .LBB2_421
; %bb.420:
	s_bcnt1_i32_b32 s9, s9
	s_delay_alu instid0(SALU_CYCLE_1)
	v_mov_b32_e32 v8, s9
	global_wb scope:SCOPE_SYS
	s_wait_loadcnt 0x0
	s_wait_storecnt 0x0
	global_atomic_add_u64 v[6:7], v[8:9], off offset:8 scope:SCOPE_SYS
.LBB2_421:
	s_wait_xcnt 0x0
	s_or_b32 exec_lo, exec_lo, s8
	s_wait_loadcnt 0x0
	global_load_b64 v[8:9], v[6:7], off offset:16
	s_wait_loadcnt 0x0
	v_cmp_eq_u64_e32 vcc_lo, 0, v[8:9]
	s_cbranch_vccnz .LBB2_423
; %bb.422:
	global_load_b32 v6, v[6:7], off offset:24
	s_wait_xcnt 0x0
	v_mov_b32_e32 v7, 0
	s_wait_loadcnt 0x0
	v_readfirstlane_b32 s8, v6
	global_wb scope:SCOPE_SYS
	s_wait_storecnt 0x0
	global_store_b64 v[8:9], v[6:7], off scope:SCOPE_SYS
	s_and_b32 m0, s8, 0xffffff
	s_sendmsg sendmsg(MSG_INTERRUPT)
.LBB2_423:
	s_wait_xcnt 0x0
	s_or_b32 exec_lo, exec_lo, s3
	v_add_nc_u64_e32 v[6:7], v[10:11], v[4:5]
	s_branch .LBB2_427
.LBB2_424:                              ;   in Loop: Header=BB2_427 Depth=1
	s_wait_xcnt 0x0
	s_or_b32 exec_lo, exec_lo, s3
	s_delay_alu instid0(VALU_DEP_1)
	v_readfirstlane_b32 s3, v3
	s_cmp_eq_u32 s3, 0
	s_cbranch_scc1 .LBB2_426
; %bb.425:                              ;   in Loop: Header=BB2_427 Depth=1
	s_sleep 1
	s_cbranch_execnz .LBB2_427
	s_branch .LBB2_429
.LBB2_426:
	s_branch .LBB2_429
.LBB2_427:                              ; =>This Inner Loop Header: Depth=1
	v_mov_b32_e32 v3, 1
	s_and_saveexec_b32 s3, s2
	s_cbranch_execz .LBB2_424
; %bb.428:                              ;   in Loop: Header=BB2_427 Depth=1
	global_load_b32 v3, v[0:1], off offset:20 scope:SCOPE_SYS
	s_wait_loadcnt 0x0
	global_inv scope:SCOPE_SYS
	v_and_b32_e32 v3, 1, v3
	s_branch .LBB2_424
.LBB2_429:
	global_load_b64 v[6:7], v[6:7], off
	s_wait_xcnt 0x0
	s_and_saveexec_b32 s8, s2
	s_cbranch_execz .LBB2_433
; %bb.430:
	v_mov_b32_e32 v3, 0
	s_clause 0x2
	global_load_b64 v[0:1], v3, s[4:5] offset:40
	global_load_b64 v[12:13], v3, s[4:5] offset:24 scope:SCOPE_SYS
	global_load_b64 v[8:9], v3, s[4:5]
	s_wait_loadcnt 0x2
	v_readfirstlane_b32 s10, v0
	v_readfirstlane_b32 s11, v1
	s_add_nc_u64 s[2:3], s[10:11], 1
	s_delay_alu instid0(SALU_CYCLE_1) | instskip(NEXT) | instid1(SALU_CYCLE_1)
	s_add_nc_u64 s[6:7], s[2:3], s[6:7]
	s_cmp_eq_u64 s[6:7], 0
	s_cselect_b32 s3, s3, s7
	s_cselect_b32 s2, s2, s6
	v_mov_b32_e32 v11, s3
	s_and_b64 s[6:7], s[2:3], s[10:11]
	v_mov_b32_e32 v10, s2
	s_mul_u64 s[6:7], s[6:7], 24
	s_wait_loadcnt 0x0
	v_add_nc_u64_e32 v[0:1], s[6:7], v[8:9]
	global_store_b64 v[0:1], v[12:13], off
	global_wb scope:SCOPE_SYS
	s_wait_storecnt 0x0
	s_wait_xcnt 0x0
	global_atomic_cmpswap_b64 v[10:11], v3, v[10:13], s[4:5] offset:24 th:TH_ATOMIC_RETURN scope:SCOPE_SYS
	s_wait_loadcnt 0x0
	v_cmp_ne_u64_e32 vcc_lo, v[10:11], v[12:13]
	s_and_b32 exec_lo, exec_lo, vcc_lo
	s_cbranch_execz .LBB2_433
; %bb.431:
	s_mov_b32 s6, 0
.LBB2_432:                              ; =>This Inner Loop Header: Depth=1
	v_dual_mov_b32 v8, s2 :: v_dual_mov_b32 v9, s3
	s_sleep 1
	global_store_b64 v[0:1], v[10:11], off
	global_wb scope:SCOPE_SYS
	s_wait_storecnt 0x0
	s_wait_xcnt 0x0
	global_atomic_cmpswap_b64 v[8:9], v3, v[8:11], s[4:5] offset:24 th:TH_ATOMIC_RETURN scope:SCOPE_SYS
	s_wait_loadcnt 0x0
	v_cmp_eq_u64_e32 vcc_lo, v[8:9], v[10:11]
	v_mov_b64_e32 v[10:11], v[8:9]
	s_or_b32 s6, vcc_lo, s6
	s_delay_alu instid0(SALU_CYCLE_1)
	s_and_not1_b32 exec_lo, exec_lo, s6
	s_cbranch_execnz .LBB2_432
.LBB2_433:
	s_or_b32 exec_lo, exec_lo, s8
	s_get_pc_i64 s[6:7]
	s_add_nc_u64 s[6:7], s[6:7], .str.9@rel64+4
	s_mov_b64 s[8:9], 0
	s_cmp_lg_u64 s[6:7], 0
	s_cselect_b32 s10, -1, 0
	s_cmp_eq_u64 s[6:7], 0
	s_cbranch_scc1 .LBB2_437
; %bb.434:
	s_get_pc_i64 s[2:3]
	s_add_nc_u64 s[2:3], s[2:3], .str.9@rel64+3
.LBB2_435:                              ; =>This Inner Loop Header: Depth=1
	s_load_u8 s8, s[2:3], 0x1
	s_wait_xcnt 0x0
	s_add_nc_u64 s[2:3], s[2:3], 1
	s_wait_kmcnt 0x0
	s_cmp_lg_u32 s8, 0
	s_cbranch_scc1 .LBB2_435
; %bb.436:
	s_get_pc_i64 s[8:9]
	s_add_nc_u64 s[8:9], s[8:9], .str.9@rel64+4
	s_delay_alu instid0(SALU_CYCLE_1) | instskip(NEXT) | instid1(SALU_CYCLE_1)
	s_sub_nc_u64 s[2:3], s[2:3], s[8:9]
	s_add_nc_u64 s[8:9], s[2:3], 1
.LBB2_437:
	s_and_b32 vcc_lo, exec_lo, s10
	s_cbranch_vccz .LBB2_516
; %bb.438:
	v_mov_b64_e32 v[14:15], 0x100000002
	s_wait_loadcnt 0x0
	v_dual_mov_b32 v13, 0 :: v_dual_bitop2_b32 v0, 2, v6 bitop3:0x40
	v_dual_mov_b32 v9, v7 :: v_dual_bitop2_b32 v8, -3, v6 bitop3:0x40
	s_branch .LBB2_440
.LBB2_439:                              ;   in Loop: Header=BB2_440 Depth=1
	s_or_b32 exec_lo, exec_lo, s14
	s_sub_nc_u64 s[8:9], s[8:9], s[10:11]
	s_add_nc_u64 s[6:7], s[6:7], s[10:11]
	s_cmp_lg_u64 s[8:9], 0
	s_cbranch_scc0 .LBB2_515
.LBB2_440:                              ; =>This Loop Header: Depth=1
                                        ;     Child Loop BB2_443 Depth 2
                                        ;     Child Loop BB2_450 Depth 2
	;; [unrolled: 1-line block ×11, first 2 shown]
	v_min_u64 v[10:11], s[8:9], 56
	v_cmp_gt_u64_e64 s2, s[8:9], 7
	s_and_b32 vcc_lo, exec_lo, s2
	v_readfirstlane_b32 s10, v10
	v_readfirstlane_b32 s11, v11
	s_cbranch_vccnz .LBB2_445
; %bb.441:                              ;   in Loop: Header=BB2_440 Depth=1
	v_mov_b64_e32 v[10:11], 0
	s_cmp_eq_u64 s[8:9], 0
	s_cbranch_scc1 .LBB2_444
; %bb.442:                              ;   in Loop: Header=BB2_440 Depth=1
	s_mov_b64 s[2:3], 0
	s_mov_b64 s[12:13], 0
.LBB2_443:                              ;   Parent Loop BB2_440 Depth=1
                                        ; =>  This Inner Loop Header: Depth=2
	s_wait_xcnt 0x0
	s_add_nc_u64 s[14:15], s[6:7], s[12:13]
	s_add_nc_u64 s[12:13], s[12:13], 1
	global_load_u8 v1, v13, s[14:15]
	s_cmp_lg_u32 s10, s12
	s_wait_loadcnt 0x0
	v_and_b32_e32 v12, 0xffff, v1
	s_delay_alu instid0(VALU_DEP_1) | instskip(SKIP_1) | instid1(VALU_DEP_1)
	v_lshlrev_b64_e32 v[16:17], s2, v[12:13]
	s_add_nc_u64 s[2:3], s[2:3], 8
	v_or_b32_e32 v10, v16, v10
	s_delay_alu instid0(VALU_DEP_2)
	v_or_b32_e32 v11, v17, v11
	s_cbranch_scc1 .LBB2_443
.LBB2_444:                              ;   in Loop: Header=BB2_440 Depth=1
	s_mov_b64 s[12:13], s[6:7]
	s_mov_b32 s16, 0
	s_cbranch_execz .LBB2_446
	s_branch .LBB2_447
.LBB2_445:                              ;   in Loop: Header=BB2_440 Depth=1
	s_add_nc_u64 s[12:13], s[6:7], 8
	s_mov_b32 s16, 0
.LBB2_446:                              ;   in Loop: Header=BB2_440 Depth=1
	global_load_b64 v[10:11], v13, s[6:7]
	s_add_co_i32 s16, s10, -8
.LBB2_447:                              ;   in Loop: Header=BB2_440 Depth=1
	s_delay_alu instid0(SALU_CYCLE_1)
	s_cmp_gt_u32 s16, 7
	s_cbranch_scc1 .LBB2_452
; %bb.448:                              ;   in Loop: Header=BB2_440 Depth=1
	v_mov_b64_e32 v[16:17], 0
	s_cmp_eq_u32 s16, 0
	s_cbranch_scc1 .LBB2_451
; %bb.449:                              ;   in Loop: Header=BB2_440 Depth=1
	s_mov_b64 s[2:3], 0
	s_wait_xcnt 0x0
	s_mov_b64 s[14:15], 0
.LBB2_450:                              ;   Parent Loop BB2_440 Depth=1
                                        ; =>  This Inner Loop Header: Depth=2
	s_wait_xcnt 0x0
	s_add_nc_u64 s[18:19], s[12:13], s[14:15]
	s_add_nc_u64 s[14:15], s[14:15], 1
	global_load_u8 v1, v13, s[18:19]
	s_cmp_lg_u32 s16, s14
	s_wait_loadcnt 0x0
	v_and_b32_e32 v12, 0xffff, v1
	s_delay_alu instid0(VALU_DEP_1) | instskip(SKIP_1) | instid1(VALU_DEP_1)
	v_lshlrev_b64_e32 v[18:19], s2, v[12:13]
	s_add_nc_u64 s[2:3], s[2:3], 8
	v_or_b32_e32 v16, v18, v16
	s_delay_alu instid0(VALU_DEP_2)
	v_or_b32_e32 v17, v19, v17
	s_cbranch_scc1 .LBB2_450
.LBB2_451:                              ;   in Loop: Header=BB2_440 Depth=1
	s_wait_xcnt 0x0
	s_mov_b64 s[2:3], s[12:13]
	s_mov_b32 s17, 0
	s_cbranch_execz .LBB2_453
	s_branch .LBB2_454
.LBB2_452:                              ;   in Loop: Header=BB2_440 Depth=1
	s_add_nc_u64 s[2:3], s[12:13], 8
	s_wait_xcnt 0x0
                                        ; implicit-def: $vgpr16_vgpr17
	s_mov_b32 s17, 0
.LBB2_453:                              ;   in Loop: Header=BB2_440 Depth=1
	global_load_b64 v[16:17], v13, s[12:13]
	s_add_co_i32 s17, s16, -8
.LBB2_454:                              ;   in Loop: Header=BB2_440 Depth=1
	s_delay_alu instid0(SALU_CYCLE_1)
	s_cmp_gt_u32 s17, 7
	s_cbranch_scc1 .LBB2_459
; %bb.455:                              ;   in Loop: Header=BB2_440 Depth=1
	v_mov_b64_e32 v[18:19], 0
	s_cmp_eq_u32 s17, 0
	s_cbranch_scc1 .LBB2_458
; %bb.456:                              ;   in Loop: Header=BB2_440 Depth=1
	s_wait_xcnt 0x0
	s_mov_b64 s[12:13], 0
	s_mov_b64 s[14:15], 0
.LBB2_457:                              ;   Parent Loop BB2_440 Depth=1
                                        ; =>  This Inner Loop Header: Depth=2
	s_wait_xcnt 0x0
	s_add_nc_u64 s[18:19], s[2:3], s[14:15]
	s_add_nc_u64 s[14:15], s[14:15], 1
	global_load_u8 v1, v13, s[18:19]
	s_cmp_lg_u32 s17, s14
	s_wait_loadcnt 0x0
	v_and_b32_e32 v12, 0xffff, v1
	s_delay_alu instid0(VALU_DEP_1) | instskip(SKIP_1) | instid1(VALU_DEP_1)
	v_lshlrev_b64_e32 v[20:21], s12, v[12:13]
	s_add_nc_u64 s[12:13], s[12:13], 8
	v_or_b32_e32 v18, v20, v18
	s_delay_alu instid0(VALU_DEP_2)
	v_or_b32_e32 v19, v21, v19
	s_cbranch_scc1 .LBB2_457
.LBB2_458:                              ;   in Loop: Header=BB2_440 Depth=1
	s_wait_xcnt 0x0
	s_mov_b64 s[12:13], s[2:3]
	s_mov_b32 s16, 0
	s_cbranch_execz .LBB2_460
	s_branch .LBB2_461
.LBB2_459:                              ;   in Loop: Header=BB2_440 Depth=1
	s_wait_xcnt 0x0
	s_add_nc_u64 s[12:13], s[2:3], 8
	s_mov_b32 s16, 0
.LBB2_460:                              ;   in Loop: Header=BB2_440 Depth=1
	global_load_b64 v[18:19], v13, s[2:3]
	s_add_co_i32 s16, s17, -8
.LBB2_461:                              ;   in Loop: Header=BB2_440 Depth=1
	s_delay_alu instid0(SALU_CYCLE_1)
	s_cmp_gt_u32 s16, 7
	s_cbranch_scc1 .LBB2_466
; %bb.462:                              ;   in Loop: Header=BB2_440 Depth=1
	v_mov_b64_e32 v[20:21], 0
	s_cmp_eq_u32 s16, 0
	s_cbranch_scc1 .LBB2_465
; %bb.463:                              ;   in Loop: Header=BB2_440 Depth=1
	s_wait_xcnt 0x0
	s_mov_b64 s[2:3], 0
	s_mov_b64 s[14:15], 0
.LBB2_464:                              ;   Parent Loop BB2_440 Depth=1
                                        ; =>  This Inner Loop Header: Depth=2
	s_wait_xcnt 0x0
	s_add_nc_u64 s[18:19], s[12:13], s[14:15]
	s_add_nc_u64 s[14:15], s[14:15], 1
	global_load_u8 v1, v13, s[18:19]
	s_cmp_lg_u32 s16, s14
	s_wait_loadcnt 0x0
	v_and_b32_e32 v12, 0xffff, v1
	s_delay_alu instid0(VALU_DEP_1) | instskip(SKIP_1) | instid1(VALU_DEP_1)
	v_lshlrev_b64_e32 v[22:23], s2, v[12:13]
	s_add_nc_u64 s[2:3], s[2:3], 8
	v_or_b32_e32 v20, v22, v20
	s_delay_alu instid0(VALU_DEP_2)
	v_or_b32_e32 v21, v23, v21
	s_cbranch_scc1 .LBB2_464
.LBB2_465:                              ;   in Loop: Header=BB2_440 Depth=1
	s_wait_xcnt 0x0
	s_mov_b64 s[2:3], s[12:13]
	s_mov_b32 s17, 0
	s_cbranch_execz .LBB2_467
	s_branch .LBB2_468
.LBB2_466:                              ;   in Loop: Header=BB2_440 Depth=1
	s_wait_xcnt 0x0
	s_add_nc_u64 s[2:3], s[12:13], 8
                                        ; implicit-def: $vgpr20_vgpr21
	s_mov_b32 s17, 0
.LBB2_467:                              ;   in Loop: Header=BB2_440 Depth=1
	global_load_b64 v[20:21], v13, s[12:13]
	s_add_co_i32 s17, s16, -8
.LBB2_468:                              ;   in Loop: Header=BB2_440 Depth=1
	s_delay_alu instid0(SALU_CYCLE_1)
	s_cmp_gt_u32 s17, 7
	s_cbranch_scc1 .LBB2_473
; %bb.469:                              ;   in Loop: Header=BB2_440 Depth=1
	v_mov_b64_e32 v[22:23], 0
	s_cmp_eq_u32 s17, 0
	s_cbranch_scc1 .LBB2_472
; %bb.470:                              ;   in Loop: Header=BB2_440 Depth=1
	s_wait_xcnt 0x0
	s_mov_b64 s[12:13], 0
	s_mov_b64 s[14:15], 0
.LBB2_471:                              ;   Parent Loop BB2_440 Depth=1
                                        ; =>  This Inner Loop Header: Depth=2
	s_wait_xcnt 0x0
	s_add_nc_u64 s[18:19], s[2:3], s[14:15]
	s_add_nc_u64 s[14:15], s[14:15], 1
	global_load_u8 v1, v13, s[18:19]
	s_cmp_lg_u32 s17, s14
	s_wait_loadcnt 0x0
	v_and_b32_e32 v12, 0xffff, v1
	s_delay_alu instid0(VALU_DEP_1) | instskip(SKIP_1) | instid1(VALU_DEP_1)
	v_lshlrev_b64_e32 v[24:25], s12, v[12:13]
	s_add_nc_u64 s[12:13], s[12:13], 8
	v_or_b32_e32 v22, v24, v22
	s_delay_alu instid0(VALU_DEP_2)
	v_or_b32_e32 v23, v25, v23
	s_cbranch_scc1 .LBB2_471
.LBB2_472:                              ;   in Loop: Header=BB2_440 Depth=1
	s_wait_xcnt 0x0
	s_mov_b64 s[12:13], s[2:3]
	s_mov_b32 s16, 0
	s_cbranch_execz .LBB2_474
	s_branch .LBB2_475
.LBB2_473:                              ;   in Loop: Header=BB2_440 Depth=1
	s_wait_xcnt 0x0
	s_add_nc_u64 s[12:13], s[2:3], 8
	s_mov_b32 s16, 0
.LBB2_474:                              ;   in Loop: Header=BB2_440 Depth=1
	global_load_b64 v[22:23], v13, s[2:3]
	s_add_co_i32 s16, s17, -8
.LBB2_475:                              ;   in Loop: Header=BB2_440 Depth=1
	s_delay_alu instid0(SALU_CYCLE_1)
	s_cmp_gt_u32 s16, 7
	s_cbranch_scc1 .LBB2_480
; %bb.476:                              ;   in Loop: Header=BB2_440 Depth=1
	v_mov_b64_e32 v[24:25], 0
	s_cmp_eq_u32 s16, 0
	s_cbranch_scc1 .LBB2_479
; %bb.477:                              ;   in Loop: Header=BB2_440 Depth=1
	s_wait_xcnt 0x0
	s_mov_b64 s[2:3], 0
	s_mov_b64 s[14:15], 0
.LBB2_478:                              ;   Parent Loop BB2_440 Depth=1
                                        ; =>  This Inner Loop Header: Depth=2
	s_wait_xcnt 0x0
	s_add_nc_u64 s[18:19], s[12:13], s[14:15]
	s_add_nc_u64 s[14:15], s[14:15], 1
	global_load_u8 v1, v13, s[18:19]
	s_cmp_lg_u32 s16, s14
	s_wait_loadcnt 0x0
	v_and_b32_e32 v12, 0xffff, v1
	s_delay_alu instid0(VALU_DEP_1) | instskip(SKIP_1) | instid1(VALU_DEP_1)
	v_lshlrev_b64_e32 v[26:27], s2, v[12:13]
	s_add_nc_u64 s[2:3], s[2:3], 8
	v_or_b32_e32 v24, v26, v24
	s_delay_alu instid0(VALU_DEP_2)
	v_or_b32_e32 v25, v27, v25
	s_cbranch_scc1 .LBB2_478
.LBB2_479:                              ;   in Loop: Header=BB2_440 Depth=1
	s_wait_xcnt 0x0
	s_mov_b64 s[2:3], s[12:13]
	s_mov_b32 s17, 0
	s_cbranch_execz .LBB2_481
	s_branch .LBB2_482
.LBB2_480:                              ;   in Loop: Header=BB2_440 Depth=1
	s_wait_xcnt 0x0
	s_add_nc_u64 s[2:3], s[12:13], 8
                                        ; implicit-def: $vgpr24_vgpr25
	s_mov_b32 s17, 0
.LBB2_481:                              ;   in Loop: Header=BB2_440 Depth=1
	global_load_b64 v[24:25], v13, s[12:13]
	s_add_co_i32 s17, s16, -8
.LBB2_482:                              ;   in Loop: Header=BB2_440 Depth=1
	s_delay_alu instid0(SALU_CYCLE_1)
	s_cmp_gt_u32 s17, 7
	s_cbranch_scc1 .LBB2_487
; %bb.483:                              ;   in Loop: Header=BB2_440 Depth=1
	v_mov_b64_e32 v[26:27], 0
	s_cmp_eq_u32 s17, 0
	s_cbranch_scc1 .LBB2_486
; %bb.484:                              ;   in Loop: Header=BB2_440 Depth=1
	s_wait_xcnt 0x0
	s_mov_b64 s[12:13], 0
	s_mov_b64 s[14:15], s[2:3]
.LBB2_485:                              ;   Parent Loop BB2_440 Depth=1
                                        ; =>  This Inner Loop Header: Depth=2
	global_load_u8 v1, v13, s[14:15]
	s_add_co_i32 s17, s17, -1
	s_wait_xcnt 0x0
	s_add_nc_u64 s[14:15], s[14:15], 1
	s_cmp_lg_u32 s17, 0
	s_wait_loadcnt 0x0
	v_and_b32_e32 v12, 0xffff, v1
	s_delay_alu instid0(VALU_DEP_1) | instskip(SKIP_1) | instid1(VALU_DEP_1)
	v_lshlrev_b64_e32 v[28:29], s12, v[12:13]
	s_add_nc_u64 s[12:13], s[12:13], 8
	v_or_b32_e32 v26, v28, v26
	s_delay_alu instid0(VALU_DEP_2)
	v_or_b32_e32 v27, v29, v27
	s_cbranch_scc1 .LBB2_485
.LBB2_486:                              ;   in Loop: Header=BB2_440 Depth=1
	s_wait_xcnt 0x0
	s_cbranch_execz .LBB2_488
	s_branch .LBB2_489
.LBB2_487:                              ;   in Loop: Header=BB2_440 Depth=1
	s_wait_xcnt 0x0
.LBB2_488:                              ;   in Loop: Header=BB2_440 Depth=1
	global_load_b64 v[26:27], v13, s[2:3]
.LBB2_489:                              ;   in Loop: Header=BB2_440 Depth=1
	s_wait_xcnt 0x0
	v_readfirstlane_b32 s2, v33
	v_mov_b64_e32 v[34:35], 0
	s_delay_alu instid0(VALU_DEP_2)
	v_cmp_eq_u32_e64 s2, s2, v33
	s_and_saveexec_b32 s3, s2
	s_cbranch_execz .LBB2_495
; %bb.490:                              ;   in Loop: Header=BB2_440 Depth=1
	global_load_b64 v[30:31], v13, s[4:5] offset:24 scope:SCOPE_SYS
	s_wait_loadcnt 0x0
	global_inv scope:SCOPE_SYS
	s_clause 0x1
	global_load_b64 v[28:29], v13, s[4:5] offset:40
	global_load_b64 v[34:35], v13, s[4:5]
	s_mov_b32 s12, exec_lo
	s_wait_loadcnt 0x1
	v_and_b32_e32 v28, v28, v30
	v_and_b32_e32 v29, v29, v31
	s_delay_alu instid0(VALU_DEP_1) | instskip(SKIP_1) | instid1(VALU_DEP_1)
	v_mul_u64_e32 v[28:29], 24, v[28:29]
	s_wait_loadcnt 0x0
	v_add_nc_u64_e32 v[28:29], v[34:35], v[28:29]
	global_load_b64 v[28:29], v[28:29], off scope:SCOPE_SYS
	s_wait_xcnt 0x0
	s_wait_loadcnt 0x0
	global_atomic_cmpswap_b64 v[34:35], v13, v[28:31], s[4:5] offset:24 th:TH_ATOMIC_RETURN scope:SCOPE_SYS
	s_wait_loadcnt 0x0
	global_inv scope:SCOPE_SYS
	s_wait_xcnt 0x0
	v_cmpx_ne_u64_e64 v[34:35], v[30:31]
	s_cbranch_execz .LBB2_494
; %bb.491:                              ;   in Loop: Header=BB2_440 Depth=1
	s_mov_b32 s13, 0
.LBB2_492:                              ;   Parent Loop BB2_440 Depth=1
                                        ; =>  This Inner Loop Header: Depth=2
	s_sleep 1
	s_clause 0x1
	global_load_b64 v[28:29], v13, s[4:5] offset:40
	global_load_b64 v[36:37], v13, s[4:5]
	v_mov_b64_e32 v[30:31], v[34:35]
	s_wait_loadcnt 0x1
	s_delay_alu instid0(VALU_DEP_1) | instskip(SKIP_1) | instid1(VALU_DEP_1)
	v_and_b32_e32 v1, v28, v30
	s_wait_loadcnt 0x0
	v_mad_nc_u64_u32 v[34:35], v1, 24, v[36:37]
	s_delay_alu instid0(VALU_DEP_3) | instskip(NEXT) | instid1(VALU_DEP_1)
	v_and_b32_e32 v1, v29, v31
	v_mad_u32 v35, v1, 24, v35
	global_load_b64 v[28:29], v[34:35], off scope:SCOPE_SYS
	s_wait_xcnt 0x0
	s_wait_loadcnt 0x0
	global_atomic_cmpswap_b64 v[34:35], v13, v[28:31], s[4:5] offset:24 th:TH_ATOMIC_RETURN scope:SCOPE_SYS
	s_wait_loadcnt 0x0
	global_inv scope:SCOPE_SYS
	v_cmp_eq_u64_e32 vcc_lo, v[34:35], v[30:31]
	s_or_b32 s13, vcc_lo, s13
	s_wait_xcnt 0x0
	s_and_not1_b32 exec_lo, exec_lo, s13
	s_cbranch_execnz .LBB2_492
; %bb.493:                              ;   in Loop: Header=BB2_440 Depth=1
	s_or_b32 exec_lo, exec_lo, s13
.LBB2_494:                              ;   in Loop: Header=BB2_440 Depth=1
	s_delay_alu instid0(SALU_CYCLE_1)
	s_or_b32 exec_lo, exec_lo, s12
.LBB2_495:                              ;   in Loop: Header=BB2_440 Depth=1
	s_delay_alu instid0(SALU_CYCLE_1)
	s_or_b32 exec_lo, exec_lo, s3
	s_clause 0x1
	global_load_b64 v[36:37], v13, s[4:5] offset:40
	global_load_b128 v[28:31], v13, s[4:5]
	v_readfirstlane_b32 s12, v34
	v_readfirstlane_b32 s13, v35
	s_mov_b32 s3, exec_lo
	s_wait_loadcnt 0x1
	v_and_b32_e32 v36, s12, v36
	v_and_b32_e32 v37, s13, v37
	s_delay_alu instid0(VALU_DEP_1) | instskip(SKIP_1) | instid1(VALU_DEP_1)
	v_mul_u64_e32 v[34:35], 24, v[36:37]
	s_wait_loadcnt 0x0
	v_add_nc_u64_e32 v[34:35], v[28:29], v[34:35]
	s_wait_xcnt 0x0
	s_and_saveexec_b32 s14, s2
	s_cbranch_execz .LBB2_497
; %bb.496:                              ;   in Loop: Header=BB2_440 Depth=1
	v_mov_b32_e32 v12, s3
	global_store_b128 v[34:35], v[12:15], off offset:8
.LBB2_497:                              ;   in Loop: Header=BB2_440 Depth=1
	s_wait_xcnt 0x0
	s_or_b32 exec_lo, exec_lo, s14
	v_cmp_lt_u64_e64 vcc_lo, s[8:9], 57
	v_lshlrev_b64_e32 v[36:37], 12, v[36:37]
	v_and_b32_e32 v3, 0xffffff1f, v8
	s_lshl_b32 s3, s10, 2
	s_delay_alu instid0(SALU_CYCLE_1) | instskip(SKIP_1) | instid1(VALU_DEP_3)
	s_add_co_i32 s3, s3, 28
	v_cndmask_b32_e32 v1, 0, v0, vcc_lo
	v_add_nc_u64_e32 v[30:31], v[30:31], v[36:37]
	s_delay_alu instid0(VALU_DEP_2) | instskip(NEXT) | instid1(VALU_DEP_2)
	v_or_b32_e32 v1, v3, v1
	v_readfirstlane_b32 s14, v30
	s_delay_alu instid0(VALU_DEP_3) | instskip(NEXT) | instid1(VALU_DEP_3)
	v_readfirstlane_b32 s15, v31
	v_and_or_b32 v8, 0x1e0, s3, v1
	s_clause 0x3
	global_store_b128 v4, v[8:11], s[14:15]
	global_store_b128 v4, v[16:19], s[14:15] offset:16
	global_store_b128 v4, v[20:23], s[14:15] offset:32
	;; [unrolled: 1-line block ×3, first 2 shown]
	s_wait_xcnt 0x0
	s_and_saveexec_b32 s3, s2
	s_cbranch_execz .LBB2_505
; %bb.498:                              ;   in Loop: Header=BB2_440 Depth=1
	s_clause 0x1
	global_load_b64 v[20:21], v13, s[4:5] offset:32 scope:SCOPE_SYS
	global_load_b64 v[8:9], v13, s[4:5] offset:40
	s_mov_b32 s14, exec_lo
	v_dual_mov_b32 v18, s12 :: v_dual_mov_b32 v19, s13
	s_wait_loadcnt 0x0
	v_and_b32_e32 v9, s13, v9
	v_and_b32_e32 v8, s12, v8
	s_delay_alu instid0(VALU_DEP_1) | instskip(NEXT) | instid1(VALU_DEP_1)
	v_mul_u64_e32 v[8:9], 24, v[8:9]
	v_add_nc_u64_e32 v[16:17], v[28:29], v[8:9]
	global_store_b64 v[16:17], v[20:21], off
	global_wb scope:SCOPE_SYS
	s_wait_storecnt 0x0
	s_wait_xcnt 0x0
	global_atomic_cmpswap_b64 v[10:11], v13, v[18:21], s[4:5] offset:32 th:TH_ATOMIC_RETURN scope:SCOPE_SYS
	s_wait_loadcnt 0x0
	v_cmpx_ne_u64_e64 v[10:11], v[20:21]
	s_cbranch_execz .LBB2_501
; %bb.499:                              ;   in Loop: Header=BB2_440 Depth=1
	s_mov_b32 s15, 0
.LBB2_500:                              ;   Parent Loop BB2_440 Depth=1
                                        ; =>  This Inner Loop Header: Depth=2
	v_dual_mov_b32 v8, s12 :: v_dual_mov_b32 v9, s13
	s_sleep 1
	global_store_b64 v[16:17], v[10:11], off
	global_wb scope:SCOPE_SYS
	s_wait_storecnt 0x0
	s_wait_xcnt 0x0
	global_atomic_cmpswap_b64 v[8:9], v13, v[8:11], s[4:5] offset:32 th:TH_ATOMIC_RETURN scope:SCOPE_SYS
	s_wait_loadcnt 0x0
	v_cmp_eq_u64_e32 vcc_lo, v[8:9], v[10:11]
	v_mov_b64_e32 v[10:11], v[8:9]
	s_or_b32 s15, vcc_lo, s15
	s_delay_alu instid0(SALU_CYCLE_1)
	s_and_not1_b32 exec_lo, exec_lo, s15
	s_cbranch_execnz .LBB2_500
.LBB2_501:                              ;   in Loop: Header=BB2_440 Depth=1
	s_or_b32 exec_lo, exec_lo, s14
	global_load_b64 v[8:9], v13, s[4:5] offset:16
	s_mov_b32 s15, exec_lo
	s_mov_b32 s14, exec_lo
	v_mbcnt_lo_u32_b32 v1, s15, 0
	s_wait_xcnt 0x0
	s_delay_alu instid0(VALU_DEP_1)
	v_cmpx_eq_u32_e32 0, v1
	s_cbranch_execz .LBB2_503
; %bb.502:                              ;   in Loop: Header=BB2_440 Depth=1
	s_bcnt1_i32_b32 s15, s15
	s_delay_alu instid0(SALU_CYCLE_1)
	v_mov_b32_e32 v12, s15
	global_wb scope:SCOPE_SYS
	s_wait_loadcnt 0x0
	s_wait_storecnt 0x0
	global_atomic_add_u64 v[8:9], v[12:13], off offset:8 scope:SCOPE_SYS
.LBB2_503:                              ;   in Loop: Header=BB2_440 Depth=1
	s_wait_xcnt 0x0
	s_or_b32 exec_lo, exec_lo, s14
	s_wait_loadcnt 0x0
	global_load_b64 v[10:11], v[8:9], off offset:16
	s_wait_loadcnt 0x0
	v_cmp_eq_u64_e32 vcc_lo, 0, v[10:11]
	s_cbranch_vccnz .LBB2_505
; %bb.504:                              ;   in Loop: Header=BB2_440 Depth=1
	global_load_b32 v12, v[8:9], off offset:24
	s_wait_loadcnt 0x0
	v_readfirstlane_b32 s14, v12
	global_wb scope:SCOPE_SYS
	s_wait_storecnt 0x0
	s_wait_xcnt 0x0
	global_store_b64 v[10:11], v[12:13], off scope:SCOPE_SYS
	s_and_b32 m0, s14, 0xffffff
	s_sendmsg sendmsg(MSG_INTERRUPT)
.LBB2_505:                              ;   in Loop: Header=BB2_440 Depth=1
	s_wait_xcnt 0x0
	s_or_b32 exec_lo, exec_lo, s3
	v_mov_b32_e32 v5, v13
	s_delay_alu instid0(VALU_DEP_1)
	v_add_nc_u64_e32 v[8:9], v[30:31], v[4:5]
	s_branch .LBB2_509
.LBB2_506:                              ;   in Loop: Header=BB2_509 Depth=2
	s_wait_xcnt 0x0
	s_or_b32 exec_lo, exec_lo, s3
	s_delay_alu instid0(VALU_DEP_1)
	v_readfirstlane_b32 s3, v1
	s_cmp_eq_u32 s3, 0
	s_cbranch_scc1 .LBB2_508
; %bb.507:                              ;   in Loop: Header=BB2_509 Depth=2
	s_sleep 1
	s_cbranch_execnz .LBB2_509
	s_branch .LBB2_511
.LBB2_508:                              ;   in Loop: Header=BB2_440 Depth=1
	s_branch .LBB2_511
.LBB2_509:                              ;   Parent Loop BB2_440 Depth=1
                                        ; =>  This Inner Loop Header: Depth=2
	v_mov_b32_e32 v1, 1
	s_and_saveexec_b32 s3, s2
	s_cbranch_execz .LBB2_506
; %bb.510:                              ;   in Loop: Header=BB2_509 Depth=2
	global_load_b32 v1, v[34:35], off offset:20 scope:SCOPE_SYS
	s_wait_loadcnt 0x0
	global_inv scope:SCOPE_SYS
	v_and_b32_e32 v1, 1, v1
	s_branch .LBB2_506
.LBB2_511:                              ;   in Loop: Header=BB2_440 Depth=1
	global_load_b64 v[8:9], v[8:9], off
	s_wait_xcnt 0x0
	s_and_saveexec_b32 s14, s2
	s_cbranch_execz .LBB2_439
; %bb.512:                              ;   in Loop: Header=BB2_440 Depth=1
	s_clause 0x2
	global_load_b64 v[10:11], v13, s[4:5] offset:40
	global_load_b64 v[20:21], v13, s[4:5] offset:24 scope:SCOPE_SYS
	global_load_b64 v[16:17], v13, s[4:5]
	s_wait_loadcnt 0x2
	v_readfirstlane_b32 s16, v10
	v_readfirstlane_b32 s17, v11
	s_add_nc_u64 s[2:3], s[16:17], 1
	s_delay_alu instid0(SALU_CYCLE_1) | instskip(NEXT) | instid1(SALU_CYCLE_1)
	s_add_nc_u64 s[12:13], s[2:3], s[12:13]
	s_cmp_eq_u64 s[12:13], 0
	s_cselect_b32 s3, s3, s13
	s_cselect_b32 s2, s2, s12
	s_delay_alu instid0(SALU_CYCLE_1) | instskip(SKIP_1) | instid1(SALU_CYCLE_1)
	v_dual_mov_b32 v19, s3 :: v_dual_mov_b32 v18, s2
	s_and_b64 s[12:13], s[2:3], s[16:17]
	s_mul_u64 s[12:13], s[12:13], 24
	s_wait_loadcnt 0x0
	v_add_nc_u64_e32 v[10:11], s[12:13], v[16:17]
	global_store_b64 v[10:11], v[20:21], off
	global_wb scope:SCOPE_SYS
	s_wait_storecnt 0x0
	s_wait_xcnt 0x0
	global_atomic_cmpswap_b64 v[18:19], v13, v[18:21], s[4:5] offset:24 th:TH_ATOMIC_RETURN scope:SCOPE_SYS
	s_wait_loadcnt 0x0
	v_cmp_ne_u64_e32 vcc_lo, v[18:19], v[20:21]
	s_and_b32 exec_lo, exec_lo, vcc_lo
	s_cbranch_execz .LBB2_439
; %bb.513:                              ;   in Loop: Header=BB2_440 Depth=1
	s_mov_b32 s12, 0
.LBB2_514:                              ;   Parent Loop BB2_440 Depth=1
                                        ; =>  This Inner Loop Header: Depth=2
	v_dual_mov_b32 v16, s2 :: v_dual_mov_b32 v17, s3
	s_sleep 1
	global_store_b64 v[10:11], v[18:19], off
	global_wb scope:SCOPE_SYS
	s_wait_storecnt 0x0
	s_wait_xcnt 0x0
	global_atomic_cmpswap_b64 v[16:17], v13, v[16:19], s[4:5] offset:24 th:TH_ATOMIC_RETURN scope:SCOPE_SYS
	s_wait_loadcnt 0x0
	v_cmp_eq_u64_e32 vcc_lo, v[16:17], v[18:19]
	v_mov_b64_e32 v[18:19], v[16:17]
	s_or_b32 s12, vcc_lo, s12
	s_delay_alu instid0(SALU_CYCLE_1)
	s_and_not1_b32 exec_lo, exec_lo, s12
	s_cbranch_execnz .LBB2_514
	s_branch .LBB2_439
.LBB2_515:
	s_branch .LBB2_544
.LBB2_516:
                                        ; implicit-def: $vgpr8_vgpr9
	s_cbranch_execz .LBB2_544
; %bb.517:
	v_readfirstlane_b32 s2, v33
	v_mov_b64_e32 v[0:1], 0
	s_delay_alu instid0(VALU_DEP_2)
	v_cmp_eq_u32_e64 s2, s2, v33
	s_and_saveexec_b32 s3, s2
	s_cbranch_execz .LBB2_523
; %bb.518:
	v_mov_b32_e32 v3, 0
	s_mov_b32 s6, exec_lo
	global_load_b64 v[10:11], v3, s[4:5] offset:24 scope:SCOPE_SYS
	s_wait_loadcnt 0x0
	global_inv scope:SCOPE_SYS
	s_clause 0x1
	global_load_b64 v[0:1], v3, s[4:5] offset:40
	global_load_b64 v[8:9], v3, s[4:5]
	s_wait_loadcnt 0x1
	v_and_b32_e32 v0, v0, v10
	v_and_b32_e32 v1, v1, v11
	s_delay_alu instid0(VALU_DEP_1) | instskip(SKIP_1) | instid1(VALU_DEP_1)
	v_mul_u64_e32 v[0:1], 24, v[0:1]
	s_wait_loadcnt 0x0
	v_add_nc_u64_e32 v[0:1], v[8:9], v[0:1]
	global_load_b64 v[8:9], v[0:1], off scope:SCOPE_SYS
	s_wait_xcnt 0x0
	s_wait_loadcnt 0x0
	global_atomic_cmpswap_b64 v[0:1], v3, v[8:11], s[4:5] offset:24 th:TH_ATOMIC_RETURN scope:SCOPE_SYS
	s_wait_loadcnt 0x0
	global_inv scope:SCOPE_SYS
	s_wait_xcnt 0x0
	v_cmpx_ne_u64_e64 v[0:1], v[10:11]
	s_cbranch_execz .LBB2_522
; %bb.519:
	s_mov_b32 s7, 0
.LBB2_520:                              ; =>This Inner Loop Header: Depth=1
	s_sleep 1
	s_clause 0x1
	global_load_b64 v[8:9], v3, s[4:5] offset:40
	global_load_b64 v[12:13], v3, s[4:5]
	v_mov_b64_e32 v[10:11], v[0:1]
	s_wait_loadcnt 0x1
	s_delay_alu instid0(VALU_DEP_1) | instskip(NEXT) | instid1(VALU_DEP_2)
	v_and_b32_e32 v0, v8, v10
	v_and_b32_e32 v5, v9, v11
	s_wait_loadcnt 0x0
	s_delay_alu instid0(VALU_DEP_2) | instskip(NEXT) | instid1(VALU_DEP_1)
	v_mad_nc_u64_u32 v[0:1], v0, 24, v[12:13]
	v_mad_u32 v1, v5, 24, v1
	global_load_b64 v[8:9], v[0:1], off scope:SCOPE_SYS
	s_wait_xcnt 0x0
	s_wait_loadcnt 0x0
	global_atomic_cmpswap_b64 v[0:1], v3, v[8:11], s[4:5] offset:24 th:TH_ATOMIC_RETURN scope:SCOPE_SYS
	s_wait_loadcnt 0x0
	global_inv scope:SCOPE_SYS
	v_cmp_eq_u64_e32 vcc_lo, v[0:1], v[10:11]
	s_or_b32 s7, vcc_lo, s7
	s_wait_xcnt 0x0
	s_and_not1_b32 exec_lo, exec_lo, s7
	s_cbranch_execnz .LBB2_520
; %bb.521:
	s_or_b32 exec_lo, exec_lo, s7
.LBB2_522:
	s_delay_alu instid0(SALU_CYCLE_1)
	s_or_b32 exec_lo, exec_lo, s6
.LBB2_523:
	s_delay_alu instid0(SALU_CYCLE_1)
	s_or_b32 exec_lo, exec_lo, s3
	v_readfirstlane_b32 s6, v0
	v_mov_b32_e32 v5, 0
	v_readfirstlane_b32 s7, v1
	s_mov_b32 s3, exec_lo
	s_wait_loadcnt 0x0
	s_clause 0x1
	global_load_b64 v[8:9], v5, s[4:5] offset:40
	global_load_b128 v[10:13], v5, s[4:5]
	s_wait_loadcnt 0x1
	v_and_b32_e32 v8, s6, v8
	v_and_b32_e32 v9, s7, v9
	s_delay_alu instid0(VALU_DEP_1) | instskip(SKIP_1) | instid1(VALU_DEP_1)
	v_mul_u64_e32 v[0:1], 24, v[8:9]
	s_wait_loadcnt 0x0
	v_add_nc_u64_e32 v[0:1], v[10:11], v[0:1]
	s_wait_xcnt 0x0
	s_and_saveexec_b32 s8, s2
	s_cbranch_execz .LBB2_525
; %bb.524:
	v_mov_b64_e32 v[16:17], 0x100000002
	v_dual_mov_b32 v14, s3 :: v_dual_mov_b32 v15, v5
	global_store_b128 v[0:1], v[14:17], off offset:8
.LBB2_525:
	s_wait_xcnt 0x0
	s_or_b32 exec_lo, exec_lo, s8
	v_lshlrev_b64_e32 v[8:9], 12, v[8:9]
	s_mov_b32 s8, 0
	v_and_or_b32 v6, 0xffffff1f, v6, 32
	s_mov_b32 s10, s8
	s_mov_b32 s11, s8
	;; [unrolled: 1-line block ×3, first 2 shown]
	v_mov_b64_e32 v[16:17], s[10:11]
	v_add_nc_u64_e32 v[12:13], v[12:13], v[8:9]
	v_mov_b64_e32 v[14:15], s[8:9]
	v_dual_mov_b32 v8, v5 :: v_dual_mov_b32 v9, v5
	s_delay_alu instid0(VALU_DEP_3) | instskip(NEXT) | instid1(VALU_DEP_4)
	v_readfirstlane_b32 s12, v12
	v_readfirstlane_b32 s13, v13
	s_clause 0x3
	global_store_b128 v4, v[6:9], s[12:13]
	global_store_b128 v4, v[14:17], s[12:13] offset:16
	global_store_b128 v4, v[14:17], s[12:13] offset:32
	;; [unrolled: 1-line block ×3, first 2 shown]
	s_wait_xcnt 0x0
	s_and_saveexec_b32 s3, s2
	s_cbranch_execz .LBB2_533
; %bb.526:
	v_dual_mov_b32 v3, 0 :: v_dual_mov_b32 v15, s7
	s_mov_b32 s8, exec_lo
	s_clause 0x1
	global_load_b64 v[16:17], v3, s[4:5] offset:32 scope:SCOPE_SYS
	global_load_b64 v[6:7], v3, s[4:5] offset:40
	s_wait_loadcnt 0x0
	v_dual_mov_b32 v14, s6 :: v_dual_bitop2_b32 v7, s7, v7 bitop3:0x40
	v_and_b32_e32 v6, s6, v6
	s_delay_alu instid0(VALU_DEP_1) | instskip(NEXT) | instid1(VALU_DEP_1)
	v_mul_u64_e32 v[6:7], 24, v[6:7]
	v_add_nc_u64_e32 v[10:11], v[10:11], v[6:7]
	global_store_b64 v[10:11], v[16:17], off
	global_wb scope:SCOPE_SYS
	s_wait_storecnt 0x0
	s_wait_xcnt 0x0
	global_atomic_cmpswap_b64 v[8:9], v3, v[14:17], s[4:5] offset:32 th:TH_ATOMIC_RETURN scope:SCOPE_SYS
	s_wait_loadcnt 0x0
	v_cmpx_ne_u64_e64 v[8:9], v[16:17]
	s_cbranch_execz .LBB2_529
; %bb.527:
	s_mov_b32 s9, 0
.LBB2_528:                              ; =>This Inner Loop Header: Depth=1
	v_dual_mov_b32 v6, s6 :: v_dual_mov_b32 v7, s7
	s_sleep 1
	global_store_b64 v[10:11], v[8:9], off
	global_wb scope:SCOPE_SYS
	s_wait_storecnt 0x0
	s_wait_xcnt 0x0
	global_atomic_cmpswap_b64 v[6:7], v3, v[6:9], s[4:5] offset:32 th:TH_ATOMIC_RETURN scope:SCOPE_SYS
	s_wait_loadcnt 0x0
	v_cmp_eq_u64_e32 vcc_lo, v[6:7], v[8:9]
	v_mov_b64_e32 v[8:9], v[6:7]
	s_or_b32 s9, vcc_lo, s9
	s_delay_alu instid0(SALU_CYCLE_1)
	s_and_not1_b32 exec_lo, exec_lo, s9
	s_cbranch_execnz .LBB2_528
.LBB2_529:
	s_or_b32 exec_lo, exec_lo, s8
	v_mov_b32_e32 v9, 0
	s_mov_b32 s9, exec_lo
	s_mov_b32 s8, exec_lo
	v_mbcnt_lo_u32_b32 v3, s9, 0
	global_load_b64 v[6:7], v9, s[4:5] offset:16
	s_wait_xcnt 0x0
	v_cmpx_eq_u32_e32 0, v3
	s_cbranch_execz .LBB2_531
; %bb.530:
	s_bcnt1_i32_b32 s9, s9
	s_delay_alu instid0(SALU_CYCLE_1)
	v_mov_b32_e32 v8, s9
	global_wb scope:SCOPE_SYS
	s_wait_loadcnt 0x0
	s_wait_storecnt 0x0
	global_atomic_add_u64 v[6:7], v[8:9], off offset:8 scope:SCOPE_SYS
.LBB2_531:
	s_wait_xcnt 0x0
	s_or_b32 exec_lo, exec_lo, s8
	s_wait_loadcnt 0x0
	global_load_b64 v[8:9], v[6:7], off offset:16
	s_wait_loadcnt 0x0
	v_cmp_eq_u64_e32 vcc_lo, 0, v[8:9]
	s_cbranch_vccnz .LBB2_533
; %bb.532:
	global_load_b32 v6, v[6:7], off offset:24
	s_wait_xcnt 0x0
	v_mov_b32_e32 v7, 0
	s_wait_loadcnt 0x0
	v_readfirstlane_b32 s8, v6
	global_wb scope:SCOPE_SYS
	s_wait_storecnt 0x0
	global_store_b64 v[8:9], v[6:7], off scope:SCOPE_SYS
	s_and_b32 m0, s8, 0xffffff
	s_sendmsg sendmsg(MSG_INTERRUPT)
.LBB2_533:
	s_wait_xcnt 0x0
	s_or_b32 exec_lo, exec_lo, s3
	v_add_nc_u64_e32 v[6:7], v[12:13], v[4:5]
	s_branch .LBB2_537
.LBB2_534:                              ;   in Loop: Header=BB2_537 Depth=1
	s_wait_xcnt 0x0
	s_or_b32 exec_lo, exec_lo, s3
	s_delay_alu instid0(VALU_DEP_1)
	v_readfirstlane_b32 s3, v3
	s_cmp_eq_u32 s3, 0
	s_cbranch_scc1 .LBB2_536
; %bb.535:                              ;   in Loop: Header=BB2_537 Depth=1
	s_sleep 1
	s_cbranch_execnz .LBB2_537
	s_branch .LBB2_539
.LBB2_536:
	s_branch .LBB2_539
.LBB2_537:                              ; =>This Inner Loop Header: Depth=1
	v_mov_b32_e32 v3, 1
	s_and_saveexec_b32 s3, s2
	s_cbranch_execz .LBB2_534
; %bb.538:                              ;   in Loop: Header=BB2_537 Depth=1
	global_load_b32 v3, v[0:1], off offset:20 scope:SCOPE_SYS
	s_wait_loadcnt 0x0
	global_inv scope:SCOPE_SYS
	v_and_b32_e32 v3, 1, v3
	s_branch .LBB2_534
.LBB2_539:
	global_load_b64 v[8:9], v[6:7], off
	s_wait_xcnt 0x0
	s_and_saveexec_b32 s8, s2
	s_cbranch_execz .LBB2_543
; %bb.540:
	v_mov_b32_e32 v3, 0
	s_clause 0x2
	global_load_b64 v[0:1], v3, s[4:5] offset:40
	global_load_b64 v[14:15], v3, s[4:5] offset:24 scope:SCOPE_SYS
	global_load_b64 v[6:7], v3, s[4:5]
	s_wait_loadcnt 0x2
	v_readfirstlane_b32 s10, v0
	v_readfirstlane_b32 s11, v1
	s_add_nc_u64 s[2:3], s[10:11], 1
	s_delay_alu instid0(SALU_CYCLE_1) | instskip(NEXT) | instid1(SALU_CYCLE_1)
	s_add_nc_u64 s[6:7], s[2:3], s[6:7]
	s_cmp_eq_u64 s[6:7], 0
	s_cselect_b32 s3, s3, s7
	s_cselect_b32 s2, s2, s6
	v_mov_b32_e32 v13, s3
	s_and_b64 s[6:7], s[2:3], s[10:11]
	v_mov_b32_e32 v12, s2
	s_mul_u64 s[6:7], s[6:7], 24
	s_wait_loadcnt 0x0
	v_add_nc_u64_e32 v[0:1], s[6:7], v[6:7]
	global_store_b64 v[0:1], v[14:15], off
	global_wb scope:SCOPE_SYS
	s_wait_storecnt 0x0
	s_wait_xcnt 0x0
	global_atomic_cmpswap_b64 v[12:13], v3, v[12:15], s[4:5] offset:24 th:TH_ATOMIC_RETURN scope:SCOPE_SYS
	s_wait_loadcnt 0x0
	v_cmp_ne_u64_e32 vcc_lo, v[12:13], v[14:15]
	s_and_b32 exec_lo, exec_lo, vcc_lo
	s_cbranch_execz .LBB2_543
; %bb.541:
	s_mov_b32 s6, 0
.LBB2_542:                              ; =>This Inner Loop Header: Depth=1
	v_dual_mov_b32 v10, s2 :: v_dual_mov_b32 v11, s3
	s_sleep 1
	global_store_b64 v[0:1], v[12:13], off
	global_wb scope:SCOPE_SYS
	s_wait_storecnt 0x0
	s_wait_xcnt 0x0
	global_atomic_cmpswap_b64 v[6:7], v3, v[10:13], s[4:5] offset:24 th:TH_ATOMIC_RETURN scope:SCOPE_SYS
	s_wait_loadcnt 0x0
	v_cmp_eq_u64_e32 vcc_lo, v[6:7], v[12:13]
	v_mov_b64_e32 v[12:13], v[6:7]
	s_or_b32 s6, vcc_lo, s6
	s_delay_alu instid0(SALU_CYCLE_1)
	s_and_not1_b32 exec_lo, exec_lo, s6
	s_cbranch_execnz .LBB2_542
.LBB2_543:
	s_or_b32 exec_lo, exec_lo, s8
.LBB2_544:
	v_readfirstlane_b32 s2, v33
	v_mov_b64_e32 v[0:1], 0
	s_delay_alu instid0(VALU_DEP_2)
	v_cmp_eq_u32_e64 s2, s2, v33
	s_and_saveexec_b32 s3, s2
	s_cbranch_execz .LBB2_550
; %bb.545:
	v_mov_b32_e32 v3, 0
	s_mov_b32 s6, exec_lo
	global_load_b64 v[12:13], v3, s[4:5] offset:24 scope:SCOPE_SYS
	s_wait_loadcnt 0x0
	global_inv scope:SCOPE_SYS
	s_clause 0x1
	global_load_b64 v[0:1], v3, s[4:5] offset:40
	global_load_b64 v[6:7], v3, s[4:5]
	s_wait_loadcnt 0x1
	v_and_b32_e32 v0, v0, v12
	v_and_b32_e32 v1, v1, v13
	s_delay_alu instid0(VALU_DEP_1) | instskip(SKIP_1) | instid1(VALU_DEP_1)
	v_mul_u64_e32 v[0:1], 24, v[0:1]
	s_wait_loadcnt 0x0
	v_add_nc_u64_e32 v[0:1], v[6:7], v[0:1]
	global_load_b64 v[10:11], v[0:1], off scope:SCOPE_SYS
	s_wait_xcnt 0x0
	s_wait_loadcnt 0x0
	global_atomic_cmpswap_b64 v[0:1], v3, v[10:13], s[4:5] offset:24 th:TH_ATOMIC_RETURN scope:SCOPE_SYS
	s_wait_loadcnt 0x0
	global_inv scope:SCOPE_SYS
	s_wait_xcnt 0x0
	v_cmpx_ne_u64_e64 v[0:1], v[12:13]
	s_cbranch_execz .LBB2_549
; %bb.546:
	s_mov_b32 s7, 0
.LBB2_547:                              ; =>This Inner Loop Header: Depth=1
	s_sleep 1
	s_clause 0x1
	global_load_b64 v[6:7], v3, s[4:5] offset:40
	global_load_b64 v[10:11], v3, s[4:5]
	v_mov_b64_e32 v[12:13], v[0:1]
	s_wait_loadcnt 0x1
	s_delay_alu instid0(VALU_DEP_1) | instskip(NEXT) | instid1(VALU_DEP_2)
	v_and_b32_e32 v0, v6, v12
	v_and_b32_e32 v5, v7, v13
	s_wait_loadcnt 0x0
	s_delay_alu instid0(VALU_DEP_2) | instskip(NEXT) | instid1(VALU_DEP_1)
	v_mad_nc_u64_u32 v[0:1], v0, 24, v[10:11]
	v_mad_u32 v1, v5, 24, v1
	global_load_b64 v[10:11], v[0:1], off scope:SCOPE_SYS
	s_wait_xcnt 0x0
	s_wait_loadcnt 0x0
	global_atomic_cmpswap_b64 v[0:1], v3, v[10:13], s[4:5] offset:24 th:TH_ATOMIC_RETURN scope:SCOPE_SYS
	s_wait_loadcnt 0x0
	global_inv scope:SCOPE_SYS
	v_cmp_eq_u64_e32 vcc_lo, v[0:1], v[12:13]
	s_or_b32 s7, vcc_lo, s7
	s_wait_xcnt 0x0
	s_and_not1_b32 exec_lo, exec_lo, s7
	s_cbranch_execnz .LBB2_547
; %bb.548:
	s_or_b32 exec_lo, exec_lo, s7
.LBB2_549:
	s_delay_alu instid0(SALU_CYCLE_1)
	s_or_b32 exec_lo, exec_lo, s6
.LBB2_550:
	s_delay_alu instid0(SALU_CYCLE_1)
	s_or_b32 exec_lo, exec_lo, s3
	v_readfirstlane_b32 s6, v0
	v_mov_b32_e32 v5, 0
	v_readfirstlane_b32 s7, v1
	s_mov_b32 s3, exec_lo
	s_wait_loadcnt 0x0
	s_clause 0x1
	global_load_b64 v[6:7], v5, s[4:5] offset:40
	global_load_b128 v[12:15], v5, s[4:5]
	s_wait_loadcnt 0x1
	v_and_b32_e32 v6, s6, v6
	v_and_b32_e32 v7, s7, v7
	s_delay_alu instid0(VALU_DEP_1) | instskip(SKIP_1) | instid1(VALU_DEP_1)
	v_mul_u64_e32 v[0:1], 24, v[6:7]
	s_wait_loadcnt 0x0
	v_add_nc_u64_e32 v[0:1], v[12:13], v[0:1]
	s_wait_xcnt 0x0
	s_and_saveexec_b32 s8, s2
	s_cbranch_execz .LBB2_552
; %bb.551:
	v_mov_b64_e32 v[18:19], 0x100000002
	v_dual_mov_b32 v16, s3 :: v_dual_mov_b32 v17, v5
	global_store_b128 v[0:1], v[16:19], off offset:8
.LBB2_552:
	s_wait_xcnt 0x0
	s_or_b32 exec_lo, exec_lo, s8
	v_lshlrev_b64_e32 v[6:7], 12, v[6:7]
	s_mov_b32 s8, 0
	v_and_or_b32 v8, 0xffffff1f, v8, 32
	s_mov_b32 s10, s8
	s_mov_b32 s11, s8
	;; [unrolled: 1-line block ×3, first 2 shown]
	v_mov_b64_e32 v[18:19], s[10:11]
	v_add_nc_u64_e32 v[14:15], v[14:15], v[6:7]
	v_mov_b64_e32 v[16:17], s[8:9]
	v_dual_mov_b32 v10, 1 :: v_dual_mov_b32 v11, v5
	s_delay_alu instid0(VALU_DEP_3) | instskip(NEXT) | instid1(VALU_DEP_4)
	v_readfirstlane_b32 s12, v14
	v_readfirstlane_b32 s13, v15
	s_clause 0x3
	global_store_b128 v4, v[8:11], s[12:13]
	global_store_b128 v4, v[16:19], s[12:13] offset:16
	global_store_b128 v4, v[16:19], s[12:13] offset:32
	global_store_b128 v4, v[16:19], s[12:13] offset:48
	s_wait_xcnt 0x0
	s_and_saveexec_b32 s3, s2
	s_cbranch_execz .LBB2_560
; %bb.553:
	v_dual_mov_b32 v3, 0 :: v_dual_mov_b32 v17, s7
	s_mov_b32 s8, exec_lo
	s_clause 0x1
	global_load_b64 v[18:19], v3, s[4:5] offset:32 scope:SCOPE_SYS
	global_load_b64 v[6:7], v3, s[4:5] offset:40
	s_wait_loadcnt 0x0
	v_dual_mov_b32 v16, s6 :: v_dual_bitop2_b32 v7, s7, v7 bitop3:0x40
	v_and_b32_e32 v6, s6, v6
	s_delay_alu instid0(VALU_DEP_1) | instskip(NEXT) | instid1(VALU_DEP_1)
	v_mul_u64_e32 v[6:7], 24, v[6:7]
	v_add_nc_u64_e32 v[10:11], v[12:13], v[6:7]
	global_store_b64 v[10:11], v[18:19], off
	global_wb scope:SCOPE_SYS
	s_wait_storecnt 0x0
	s_wait_xcnt 0x0
	global_atomic_cmpswap_b64 v[8:9], v3, v[16:19], s[4:5] offset:32 th:TH_ATOMIC_RETURN scope:SCOPE_SYS
	s_wait_loadcnt 0x0
	v_cmpx_ne_u64_e64 v[8:9], v[18:19]
	s_cbranch_execz .LBB2_556
; %bb.554:
	s_mov_b32 s9, 0
.LBB2_555:                              ; =>This Inner Loop Header: Depth=1
	v_dual_mov_b32 v6, s6 :: v_dual_mov_b32 v7, s7
	s_sleep 1
	global_store_b64 v[10:11], v[8:9], off
	global_wb scope:SCOPE_SYS
	s_wait_storecnt 0x0
	s_wait_xcnt 0x0
	global_atomic_cmpswap_b64 v[6:7], v3, v[6:9], s[4:5] offset:32 th:TH_ATOMIC_RETURN scope:SCOPE_SYS
	s_wait_loadcnt 0x0
	v_cmp_eq_u64_e32 vcc_lo, v[6:7], v[8:9]
	v_mov_b64_e32 v[8:9], v[6:7]
	s_or_b32 s9, vcc_lo, s9
	s_delay_alu instid0(SALU_CYCLE_1)
	s_and_not1_b32 exec_lo, exec_lo, s9
	s_cbranch_execnz .LBB2_555
.LBB2_556:
	s_or_b32 exec_lo, exec_lo, s8
	v_mov_b32_e32 v9, 0
	s_mov_b32 s9, exec_lo
	s_mov_b32 s8, exec_lo
	v_mbcnt_lo_u32_b32 v3, s9, 0
	global_load_b64 v[6:7], v9, s[4:5] offset:16
	s_wait_xcnt 0x0
	v_cmpx_eq_u32_e32 0, v3
	s_cbranch_execz .LBB2_558
; %bb.557:
	s_bcnt1_i32_b32 s9, s9
	s_delay_alu instid0(SALU_CYCLE_1)
	v_mov_b32_e32 v8, s9
	global_wb scope:SCOPE_SYS
	s_wait_loadcnt 0x0
	s_wait_storecnt 0x0
	global_atomic_add_u64 v[6:7], v[8:9], off offset:8 scope:SCOPE_SYS
.LBB2_558:
	s_wait_xcnt 0x0
	s_or_b32 exec_lo, exec_lo, s8
	s_wait_loadcnt 0x0
	global_load_b64 v[8:9], v[6:7], off offset:16
	s_wait_loadcnt 0x0
	v_cmp_eq_u64_e32 vcc_lo, 0, v[8:9]
	s_cbranch_vccnz .LBB2_560
; %bb.559:
	global_load_b32 v6, v[6:7], off offset:24
	s_wait_xcnt 0x0
	v_mov_b32_e32 v7, 0
	s_wait_loadcnt 0x0
	v_readfirstlane_b32 s8, v6
	global_wb scope:SCOPE_SYS
	s_wait_storecnt 0x0
	global_store_b64 v[8:9], v[6:7], off scope:SCOPE_SYS
	s_and_b32 m0, s8, 0xffffff
	s_sendmsg sendmsg(MSG_INTERRUPT)
.LBB2_560:
	s_wait_xcnt 0x0
	s_or_b32 exec_lo, exec_lo, s3
	v_add_nc_u64_e32 v[6:7], v[14:15], v[4:5]
	s_branch .LBB2_564
.LBB2_561:                              ;   in Loop: Header=BB2_564 Depth=1
	s_wait_xcnt 0x0
	s_or_b32 exec_lo, exec_lo, s3
	s_delay_alu instid0(VALU_DEP_1)
	v_readfirstlane_b32 s3, v3
	s_cmp_eq_u32 s3, 0
	s_cbranch_scc1 .LBB2_563
; %bb.562:                              ;   in Loop: Header=BB2_564 Depth=1
	s_sleep 1
	s_cbranch_execnz .LBB2_564
	s_branch .LBB2_566
.LBB2_563:
	s_branch .LBB2_566
.LBB2_564:                              ; =>This Inner Loop Header: Depth=1
	v_mov_b32_e32 v3, 1
	s_and_saveexec_b32 s3, s2
	s_cbranch_execz .LBB2_561
; %bb.565:                              ;   in Loop: Header=BB2_564 Depth=1
	global_load_b32 v3, v[0:1], off offset:20 scope:SCOPE_SYS
	s_wait_loadcnt 0x0
	global_inv scope:SCOPE_SYS
	v_and_b32_e32 v3, 1, v3
	s_branch .LBB2_561
.LBB2_566:
	global_load_b64 v[0:1], v[6:7], off
	s_wait_xcnt 0x0
	s_and_saveexec_b32 s8, s2
	s_cbranch_execz .LBB2_570
; %bb.567:
	v_mov_b32_e32 v3, 0
	s_clause 0x2
	global_load_b64 v[6:7], v3, s[4:5] offset:40
	global_load_b64 v[14:15], v3, s[4:5] offset:24 scope:SCOPE_SYS
	global_load_b64 v[8:9], v3, s[4:5]
	s_wait_loadcnt 0x2
	v_readfirstlane_b32 s10, v6
	v_readfirstlane_b32 s11, v7
	s_add_nc_u64 s[2:3], s[10:11], 1
	s_delay_alu instid0(SALU_CYCLE_1) | instskip(NEXT) | instid1(SALU_CYCLE_1)
	s_add_nc_u64 s[6:7], s[2:3], s[6:7]
	s_cmp_eq_u64 s[6:7], 0
	s_cselect_b32 s3, s3, s7
	s_cselect_b32 s2, s2, s6
	v_mov_b32_e32 v13, s3
	s_and_b64 s[6:7], s[2:3], s[10:11]
	v_mov_b32_e32 v12, s2
	s_mul_u64 s[6:7], s[6:7], 24
	s_wait_loadcnt 0x0
	v_add_nc_u64_e32 v[10:11], s[6:7], v[8:9]
	global_store_b64 v[10:11], v[14:15], off
	global_wb scope:SCOPE_SYS
	s_wait_storecnt 0x0
	s_wait_xcnt 0x0
	global_atomic_cmpswap_b64 v[8:9], v3, v[12:15], s[4:5] offset:24 th:TH_ATOMIC_RETURN scope:SCOPE_SYS
	s_wait_loadcnt 0x0
	v_cmp_ne_u64_e32 vcc_lo, v[8:9], v[14:15]
	s_and_b32 exec_lo, exec_lo, vcc_lo
	s_cbranch_execz .LBB2_570
; %bb.568:
	s_mov_b32 s6, 0
.LBB2_569:                              ; =>This Inner Loop Header: Depth=1
	v_dual_mov_b32 v6, s2 :: v_dual_mov_b32 v7, s3
	s_sleep 1
	global_store_b64 v[10:11], v[8:9], off
	global_wb scope:SCOPE_SYS
	s_wait_storecnt 0x0
	s_wait_xcnt 0x0
	global_atomic_cmpswap_b64 v[6:7], v3, v[6:9], s[4:5] offset:24 th:TH_ATOMIC_RETURN scope:SCOPE_SYS
	s_wait_loadcnt 0x0
	v_cmp_eq_u64_e32 vcc_lo, v[6:7], v[8:9]
	v_mov_b64_e32 v[8:9], v[6:7]
	s_or_b32 s6, vcc_lo, s6
	s_delay_alu instid0(SALU_CYCLE_1)
	s_and_not1_b32 exec_lo, exec_lo, s6
	s_cbranch_execnz .LBB2_569
.LBB2_570:
	s_or_b32 exec_lo, exec_lo, s8
	v_readfirstlane_b32 s2, v33
	v_mov_b64_e32 v[10:11], 0
	s_delay_alu instid0(VALU_DEP_2)
	v_cmp_eq_u32_e64 s2, s2, v33
	s_and_saveexec_b32 s3, s2
	s_cbranch_execz .LBB2_576
; %bb.571:
	v_mov_b32_e32 v3, 0
	s_mov_b32 s6, exec_lo
	global_load_b64 v[8:9], v3, s[4:5] offset:24 scope:SCOPE_SYS
	s_wait_loadcnt 0x0
	global_inv scope:SCOPE_SYS
	s_clause 0x1
	global_load_b64 v[6:7], v3, s[4:5] offset:40
	global_load_b64 v[10:11], v3, s[4:5]
	s_wait_loadcnt 0x1
	v_and_b32_e32 v6, v6, v8
	v_and_b32_e32 v7, v7, v9
	s_delay_alu instid0(VALU_DEP_1) | instskip(SKIP_1) | instid1(VALU_DEP_1)
	v_mul_u64_e32 v[6:7], 24, v[6:7]
	s_wait_loadcnt 0x0
	v_add_nc_u64_e32 v[6:7], v[10:11], v[6:7]
	global_load_b64 v[6:7], v[6:7], off scope:SCOPE_SYS
	s_wait_xcnt 0x0
	s_wait_loadcnt 0x0
	global_atomic_cmpswap_b64 v[10:11], v3, v[6:9], s[4:5] offset:24 th:TH_ATOMIC_RETURN scope:SCOPE_SYS
	s_wait_loadcnt 0x0
	global_inv scope:SCOPE_SYS
	s_wait_xcnt 0x0
	v_cmpx_ne_u64_e64 v[10:11], v[8:9]
	s_cbranch_execz .LBB2_575
; %bb.572:
	s_mov_b32 s7, 0
.LBB2_573:                              ; =>This Inner Loop Header: Depth=1
	s_sleep 1
	s_clause 0x1
	global_load_b64 v[6:7], v3, s[4:5] offset:40
	global_load_b64 v[12:13], v3, s[4:5]
	v_mov_b64_e32 v[8:9], v[10:11]
	s_wait_loadcnt 0x1
	s_delay_alu instid0(VALU_DEP_1) | instskip(SKIP_1) | instid1(VALU_DEP_1)
	v_and_b32_e32 v5, v6, v8
	s_wait_loadcnt 0x0
	v_mad_nc_u64_u32 v[10:11], v5, 24, v[12:13]
	s_delay_alu instid0(VALU_DEP_3) | instskip(NEXT) | instid1(VALU_DEP_1)
	v_and_b32_e32 v5, v7, v9
	v_mad_u32 v11, v5, 24, v11
	global_load_b64 v[6:7], v[10:11], off scope:SCOPE_SYS
	s_wait_xcnt 0x0
	s_wait_loadcnt 0x0
	global_atomic_cmpswap_b64 v[10:11], v3, v[6:9], s[4:5] offset:24 th:TH_ATOMIC_RETURN scope:SCOPE_SYS
	s_wait_loadcnt 0x0
	global_inv scope:SCOPE_SYS
	v_cmp_eq_u64_e32 vcc_lo, v[10:11], v[8:9]
	s_or_b32 s7, vcc_lo, s7
	s_wait_xcnt 0x0
	s_and_not1_b32 exec_lo, exec_lo, s7
	s_cbranch_execnz .LBB2_573
; %bb.574:
	s_or_b32 exec_lo, exec_lo, s7
.LBB2_575:
	s_delay_alu instid0(SALU_CYCLE_1)
	s_or_b32 exec_lo, exec_lo, s6
.LBB2_576:
	s_delay_alu instid0(SALU_CYCLE_1)
	s_or_b32 exec_lo, exec_lo, s3
	v_readfirstlane_b32 s6, v10
	v_mov_b32_e32 v5, 0
	v_readfirstlane_b32 s7, v11
	s_mov_b32 s3, exec_lo
	s_clause 0x1
	global_load_b64 v[12:13], v5, s[4:5] offset:40
	global_load_b128 v[6:9], v5, s[4:5]
	s_wait_loadcnt 0x1
	v_and_b32_e32 v12, s6, v12
	v_and_b32_e32 v13, s7, v13
	s_delay_alu instid0(VALU_DEP_1) | instskip(SKIP_1) | instid1(VALU_DEP_1)
	v_mul_u64_e32 v[10:11], 24, v[12:13]
	s_wait_loadcnt 0x0
	v_add_nc_u64_e32 v[10:11], v[6:7], v[10:11]
	s_wait_xcnt 0x0
	s_and_saveexec_b32 s8, s2
	s_cbranch_execz .LBB2_578
; %bb.577:
	v_mov_b64_e32 v[16:17], 0x100000002
	v_dual_mov_b32 v14, s3 :: v_dual_mov_b32 v15, v5
	global_store_b128 v[10:11], v[14:17], off offset:8
.LBB2_578:
	s_wait_xcnt 0x0
	s_or_b32 exec_lo, exec_lo, s8
	v_lshlrev_b64_e32 v[12:13], 12, v[12:13]
	s_mov_b32 s8, 0
	v_and_or_b32 v0, 0xffffff1f, v0, 32
	s_mov_b32 s10, s8
	s_mov_b32 s11, s8
	;; [unrolled: 1-line block ×3, first 2 shown]
	v_mov_b64_e32 v[16:17], s[10:11]
	v_add_nc_u64_e32 v[12:13], v[8:9], v[12:13]
	v_mov_b64_e32 v[14:15], s[8:9]
	v_mov_b32_e32 v3, v5
	s_delay_alu instid0(VALU_DEP_3) | instskip(NEXT) | instid1(VALU_DEP_4)
	v_readfirstlane_b32 s12, v12
	v_readfirstlane_b32 s13, v13
	s_clause 0x3
	global_store_b128 v4, v[0:3], s[12:13]
	global_store_b128 v4, v[14:17], s[12:13] offset:16
	global_store_b128 v4, v[14:17], s[12:13] offset:32
	;; [unrolled: 1-line block ×3, first 2 shown]
	s_wait_xcnt 0x0
	s_and_saveexec_b32 s3, s2
	s_cbranch_execz .LBB2_586
; %bb.579:
	v_dual_mov_b32 v3, 0 :: v_dual_mov_b32 v15, s7
	s_mov_b32 s8, exec_lo
	s_clause 0x1
	global_load_b64 v[16:17], v3, s[4:5] offset:32 scope:SCOPE_SYS
	global_load_b64 v[0:1], v3, s[4:5] offset:40
	s_wait_loadcnt 0x0
	v_dual_mov_b32 v14, s6 :: v_dual_bitop2_b32 v1, s7, v1 bitop3:0x40
	v_and_b32_e32 v0, s6, v0
	s_delay_alu instid0(VALU_DEP_1) | instskip(NEXT) | instid1(VALU_DEP_1)
	v_mul_u64_e32 v[0:1], 24, v[0:1]
	v_add_nc_u64_e32 v[0:1], v[6:7], v[0:1]
	global_store_b64 v[0:1], v[16:17], off
	global_wb scope:SCOPE_SYS
	s_wait_storecnt 0x0
	s_wait_xcnt 0x0
	global_atomic_cmpswap_b64 v[8:9], v3, v[14:17], s[4:5] offset:32 th:TH_ATOMIC_RETURN scope:SCOPE_SYS
	s_wait_loadcnt 0x0
	v_cmpx_ne_u64_e64 v[8:9], v[16:17]
	s_cbranch_execz .LBB2_582
; %bb.580:
	s_mov_b32 s9, 0
.LBB2_581:                              ; =>This Inner Loop Header: Depth=1
	v_dual_mov_b32 v6, s6 :: v_dual_mov_b32 v7, s7
	s_sleep 1
	global_store_b64 v[0:1], v[8:9], off
	global_wb scope:SCOPE_SYS
	s_wait_storecnt 0x0
	s_wait_xcnt 0x0
	global_atomic_cmpswap_b64 v[6:7], v3, v[6:9], s[4:5] offset:32 th:TH_ATOMIC_RETURN scope:SCOPE_SYS
	s_wait_loadcnt 0x0
	v_cmp_eq_u64_e32 vcc_lo, v[6:7], v[8:9]
	v_mov_b64_e32 v[8:9], v[6:7]
	s_or_b32 s9, vcc_lo, s9
	s_delay_alu instid0(SALU_CYCLE_1)
	s_and_not1_b32 exec_lo, exec_lo, s9
	s_cbranch_execnz .LBB2_581
.LBB2_582:
	s_or_b32 exec_lo, exec_lo, s8
	v_mov_b32_e32 v7, 0
	s_mov_b32 s9, exec_lo
	s_mov_b32 s8, exec_lo
	v_mbcnt_lo_u32_b32 v3, s9, 0
	global_load_b64 v[0:1], v7, s[4:5] offset:16
	s_wait_xcnt 0x0
	v_cmpx_eq_u32_e32 0, v3
	s_cbranch_execz .LBB2_584
; %bb.583:
	s_bcnt1_i32_b32 s9, s9
	s_delay_alu instid0(SALU_CYCLE_1)
	v_mov_b32_e32 v6, s9
	global_wb scope:SCOPE_SYS
	s_wait_loadcnt 0x0
	s_wait_storecnt 0x0
	global_atomic_add_u64 v[0:1], v[6:7], off offset:8 scope:SCOPE_SYS
.LBB2_584:
	s_wait_xcnt 0x0
	s_or_b32 exec_lo, exec_lo, s8
	s_wait_loadcnt 0x0
	global_load_b64 v[6:7], v[0:1], off offset:16
	s_wait_loadcnt 0x0
	v_cmp_eq_u64_e32 vcc_lo, 0, v[6:7]
	s_cbranch_vccnz .LBB2_586
; %bb.585:
	global_load_b32 v0, v[0:1], off offset:24
	s_wait_xcnt 0x0
	v_mov_b32_e32 v1, 0
	s_wait_loadcnt 0x0
	v_readfirstlane_b32 s8, v0
	global_wb scope:SCOPE_SYS
	s_wait_storecnt 0x0
	global_store_b64 v[6:7], v[0:1], off scope:SCOPE_SYS
	s_and_b32 m0, s8, 0xffffff
	s_sendmsg sendmsg(MSG_INTERRUPT)
.LBB2_586:
	s_wait_xcnt 0x0
	s_or_b32 exec_lo, exec_lo, s3
	v_add_nc_u64_e32 v[0:1], v[12:13], v[4:5]
	s_branch .LBB2_590
.LBB2_587:                              ;   in Loop: Header=BB2_590 Depth=1
	s_wait_xcnt 0x0
	s_or_b32 exec_lo, exec_lo, s3
	s_delay_alu instid0(VALU_DEP_1)
	v_readfirstlane_b32 s3, v3
	s_cmp_eq_u32 s3, 0
	s_cbranch_scc1 .LBB2_589
; %bb.588:                              ;   in Loop: Header=BB2_590 Depth=1
	s_sleep 1
	s_cbranch_execnz .LBB2_590
	s_branch .LBB2_592
.LBB2_589:
	s_branch .LBB2_592
.LBB2_590:                              ; =>This Inner Loop Header: Depth=1
	v_mov_b32_e32 v3, 1
	s_and_saveexec_b32 s3, s2
	s_cbranch_execz .LBB2_587
; %bb.591:                              ;   in Loop: Header=BB2_590 Depth=1
	global_load_b32 v3, v[10:11], off offset:20 scope:SCOPE_SYS
	s_wait_loadcnt 0x0
	global_inv scope:SCOPE_SYS
	v_and_b32_e32 v3, 1, v3
	s_branch .LBB2_587
.LBB2_592:
	global_load_b64 v[6:7], v[0:1], off
	s_wait_xcnt 0x0
	s_and_saveexec_b32 s8, s2
	s_cbranch_execz .LBB2_596
; %bb.593:
	v_mov_b32_e32 v3, 0
	s_clause 0x2
	global_load_b64 v[0:1], v3, s[4:5] offset:40
	global_load_b64 v[12:13], v3, s[4:5] offset:24 scope:SCOPE_SYS
	global_load_b64 v[8:9], v3, s[4:5]
	s_wait_loadcnt 0x2
	v_readfirstlane_b32 s10, v0
	v_readfirstlane_b32 s11, v1
	s_add_nc_u64 s[2:3], s[10:11], 1
	s_delay_alu instid0(SALU_CYCLE_1) | instskip(NEXT) | instid1(SALU_CYCLE_1)
	s_add_nc_u64 s[6:7], s[2:3], s[6:7]
	s_cmp_eq_u64 s[6:7], 0
	s_cselect_b32 s3, s3, s7
	s_cselect_b32 s2, s2, s6
	v_mov_b32_e32 v11, s3
	s_and_b64 s[6:7], s[2:3], s[10:11]
	v_mov_b32_e32 v10, s2
	s_mul_u64 s[6:7], s[6:7], 24
	s_wait_loadcnt 0x0
	v_add_nc_u64_e32 v[0:1], s[6:7], v[8:9]
	global_store_b64 v[0:1], v[12:13], off
	global_wb scope:SCOPE_SYS
	s_wait_storecnt 0x0
	s_wait_xcnt 0x0
	global_atomic_cmpswap_b64 v[10:11], v3, v[10:13], s[4:5] offset:24 th:TH_ATOMIC_RETURN scope:SCOPE_SYS
	s_wait_loadcnt 0x0
	v_cmp_ne_u64_e32 vcc_lo, v[10:11], v[12:13]
	s_and_b32 exec_lo, exec_lo, vcc_lo
	s_cbranch_execz .LBB2_596
; %bb.594:
	s_mov_b32 s6, 0
.LBB2_595:                              ; =>This Inner Loop Header: Depth=1
	v_dual_mov_b32 v8, s2 :: v_dual_mov_b32 v9, s3
	s_sleep 1
	global_store_b64 v[0:1], v[10:11], off
	global_wb scope:SCOPE_SYS
	s_wait_storecnt 0x0
	s_wait_xcnt 0x0
	global_atomic_cmpswap_b64 v[8:9], v3, v[8:11], s[4:5] offset:24 th:TH_ATOMIC_RETURN scope:SCOPE_SYS
	s_wait_loadcnt 0x0
	v_cmp_eq_u64_e32 vcc_lo, v[8:9], v[10:11]
	v_mov_b64_e32 v[10:11], v[8:9]
	s_or_b32 s6, vcc_lo, s6
	s_delay_alu instid0(SALU_CYCLE_1)
	s_and_not1_b32 exec_lo, exec_lo, s6
	s_cbranch_execnz .LBB2_595
.LBB2_596:
	s_or_b32 exec_lo, exec_lo, s8
	v_readfirstlane_b32 s2, v33
	v_mov_b64_e32 v[0:1], 0
	s_delay_alu instid0(VALU_DEP_2)
	v_cmp_eq_u32_e64 s2, s2, v33
	s_and_saveexec_b32 s3, s2
	s_cbranch_execz .LBB2_602
; %bb.597:
	v_mov_b32_e32 v3, 0
	s_mov_b32 s6, exec_lo
	global_load_b64 v[10:11], v3, s[4:5] offset:24 scope:SCOPE_SYS
	s_wait_loadcnt 0x0
	global_inv scope:SCOPE_SYS
	s_clause 0x1
	global_load_b64 v[0:1], v3, s[4:5] offset:40
	global_load_b64 v[8:9], v3, s[4:5]
	s_wait_loadcnt 0x1
	v_and_b32_e32 v0, v0, v10
	v_and_b32_e32 v1, v1, v11
	s_delay_alu instid0(VALU_DEP_1) | instskip(SKIP_1) | instid1(VALU_DEP_1)
	v_mul_u64_e32 v[0:1], 24, v[0:1]
	s_wait_loadcnt 0x0
	v_add_nc_u64_e32 v[0:1], v[8:9], v[0:1]
	global_load_b64 v[8:9], v[0:1], off scope:SCOPE_SYS
	s_wait_xcnt 0x0
	s_wait_loadcnt 0x0
	global_atomic_cmpswap_b64 v[0:1], v3, v[8:11], s[4:5] offset:24 th:TH_ATOMIC_RETURN scope:SCOPE_SYS
	s_wait_loadcnt 0x0
	global_inv scope:SCOPE_SYS
	s_wait_xcnt 0x0
	v_cmpx_ne_u64_e64 v[0:1], v[10:11]
	s_cbranch_execz .LBB2_601
; %bb.598:
	s_mov_b32 s7, 0
.LBB2_599:                              ; =>This Inner Loop Header: Depth=1
	s_sleep 1
	s_clause 0x1
	global_load_b64 v[8:9], v3, s[4:5] offset:40
	global_load_b64 v[12:13], v3, s[4:5]
	v_mov_b64_e32 v[10:11], v[0:1]
	s_wait_loadcnt 0x1
	s_delay_alu instid0(VALU_DEP_1) | instskip(NEXT) | instid1(VALU_DEP_2)
	v_and_b32_e32 v0, v8, v10
	v_and_b32_e32 v5, v9, v11
	s_wait_loadcnt 0x0
	s_delay_alu instid0(VALU_DEP_2) | instskip(NEXT) | instid1(VALU_DEP_1)
	v_mad_nc_u64_u32 v[0:1], v0, 24, v[12:13]
	v_mad_u32 v1, v5, 24, v1
	global_load_b64 v[8:9], v[0:1], off scope:SCOPE_SYS
	s_wait_xcnt 0x0
	s_wait_loadcnt 0x0
	global_atomic_cmpswap_b64 v[0:1], v3, v[8:11], s[4:5] offset:24 th:TH_ATOMIC_RETURN scope:SCOPE_SYS
	s_wait_loadcnt 0x0
	global_inv scope:SCOPE_SYS
	v_cmp_eq_u64_e32 vcc_lo, v[0:1], v[10:11]
	s_or_b32 s7, vcc_lo, s7
	s_wait_xcnt 0x0
	s_and_not1_b32 exec_lo, exec_lo, s7
	s_cbranch_execnz .LBB2_599
; %bb.600:
	s_or_b32 exec_lo, exec_lo, s7
.LBB2_601:
	s_delay_alu instid0(SALU_CYCLE_1)
	s_or_b32 exec_lo, exec_lo, s6
.LBB2_602:
	s_delay_alu instid0(SALU_CYCLE_1)
	s_or_b32 exec_lo, exec_lo, s3
	v_readfirstlane_b32 s6, v0
	v_mov_b32_e32 v9, 0
	v_readfirstlane_b32 s7, v1
	s_mov_b32 s3, exec_lo
	s_clause 0x1
	global_load_b64 v[14:15], v9, s[4:5] offset:40
	global_load_b128 v[10:13], v9, s[4:5]
	s_wait_loadcnt 0x1
	v_and_b32_e32 v14, s6, v14
	v_and_b32_e32 v15, s7, v15
	s_delay_alu instid0(VALU_DEP_1) | instskip(SKIP_1) | instid1(VALU_DEP_1)
	v_mul_u64_e32 v[0:1], 24, v[14:15]
	s_wait_loadcnt 0x0
	v_add_nc_u64_e32 v[0:1], v[10:11], v[0:1]
	s_wait_xcnt 0x0
	s_and_saveexec_b32 s8, s2
	s_cbranch_execz .LBB2_604
; %bb.603:
	v_mov_b32_e32 v8, s3
	v_mov_b64_e32 v[18:19], 0x100000002
	s_delay_alu instid0(VALU_DEP_2)
	v_mov_b64_e32 v[16:17], v[8:9]
	global_store_b128 v[0:1], v[16:19], off offset:8
.LBB2_604:
	s_wait_xcnt 0x0
	s_or_b32 exec_lo, exec_lo, s8
	v_lshlrev_b64_e32 v[14:15], 12, v[14:15]
	s_mov_b32 s8, 0
	v_dual_mov_b32 v5, v9 :: v_dual_lshrrev_b32 v8, 1, v32
	s_mov_b32 s10, s8
	s_mov_b32 s11, s8
	s_mov_b32 s9, s8
	s_delay_alu instid0(VALU_DEP_2) | instskip(SKIP_3) | instid1(VALU_DEP_4)
	v_add_nc_u64_e32 v[14:15], v[12:13], v[14:15]
	v_mov_b64_e32 v[18:19], s[10:11]
	v_mov_b64_e32 v[16:17], s[8:9]
	v_and_or_b32 v6, 0xffffff1f, v6, 32
	v_readfirstlane_b32 s12, v14
	v_readfirstlane_b32 s13, v15
	s_clause 0x3
	global_store_b128 v4, v[6:9], s[12:13]
	global_store_b128 v4, v[16:19], s[12:13] offset:16
	global_store_b128 v4, v[16:19], s[12:13] offset:32
	;; [unrolled: 1-line block ×3, first 2 shown]
	s_wait_xcnt 0x0
	s_and_saveexec_b32 s3, s2
	s_cbranch_execz .LBB2_612
; %bb.605:
	v_dual_mov_b32 v3, 0 :: v_dual_mov_b32 v17, s7
	s_mov_b32 s8, exec_lo
	s_clause 0x1
	global_load_b64 v[18:19], v3, s[4:5] offset:32 scope:SCOPE_SYS
	global_load_b64 v[6:7], v3, s[4:5] offset:40
	s_wait_loadcnt 0x0
	v_dual_mov_b32 v16, s6 :: v_dual_bitop2_b32 v7, s7, v7 bitop3:0x40
	v_and_b32_e32 v6, s6, v6
	s_delay_alu instid0(VALU_DEP_1) | instskip(NEXT) | instid1(VALU_DEP_1)
	v_mul_u64_e32 v[6:7], 24, v[6:7]
	v_add_nc_u64_e32 v[6:7], v[10:11], v[6:7]
	global_store_b64 v[6:7], v[18:19], off
	global_wb scope:SCOPE_SYS
	s_wait_storecnt 0x0
	s_wait_xcnt 0x0
	global_atomic_cmpswap_b64 v[12:13], v3, v[16:19], s[4:5] offset:32 th:TH_ATOMIC_RETURN scope:SCOPE_SYS
	s_wait_loadcnt 0x0
	v_cmpx_ne_u64_e64 v[12:13], v[18:19]
	s_cbranch_execz .LBB2_608
; %bb.606:
	s_mov_b32 s9, 0
.LBB2_607:                              ; =>This Inner Loop Header: Depth=1
	v_dual_mov_b32 v10, s6 :: v_dual_mov_b32 v11, s7
	s_sleep 1
	global_store_b64 v[6:7], v[12:13], off
	global_wb scope:SCOPE_SYS
	s_wait_storecnt 0x0
	s_wait_xcnt 0x0
	global_atomic_cmpswap_b64 v[10:11], v3, v[10:13], s[4:5] offset:32 th:TH_ATOMIC_RETURN scope:SCOPE_SYS
	s_wait_loadcnt 0x0
	v_cmp_eq_u64_e32 vcc_lo, v[10:11], v[12:13]
	v_mov_b64_e32 v[12:13], v[10:11]
	s_or_b32 s9, vcc_lo, s9
	s_delay_alu instid0(SALU_CYCLE_1)
	s_and_not1_b32 exec_lo, exec_lo, s9
	s_cbranch_execnz .LBB2_607
.LBB2_608:
	s_or_b32 exec_lo, exec_lo, s8
	v_mov_b32_e32 v11, 0
	s_mov_b32 s9, exec_lo
	s_mov_b32 s8, exec_lo
	v_mbcnt_lo_u32_b32 v3, s9, 0
	global_load_b64 v[6:7], v11, s[4:5] offset:16
	s_wait_xcnt 0x0
	v_cmpx_eq_u32_e32 0, v3
	s_cbranch_execz .LBB2_610
; %bb.609:
	s_bcnt1_i32_b32 s9, s9
	s_delay_alu instid0(SALU_CYCLE_1)
	v_mov_b32_e32 v10, s9
	global_wb scope:SCOPE_SYS
	s_wait_loadcnt 0x0
	s_wait_storecnt 0x0
	global_atomic_add_u64 v[6:7], v[10:11], off offset:8 scope:SCOPE_SYS
.LBB2_610:
	s_wait_xcnt 0x0
	s_or_b32 exec_lo, exec_lo, s8
	s_wait_loadcnt 0x0
	global_load_b64 v[10:11], v[6:7], off offset:16
	s_wait_loadcnt 0x0
	v_cmp_eq_u64_e32 vcc_lo, 0, v[10:11]
	s_cbranch_vccnz .LBB2_612
; %bb.611:
	global_load_b32 v6, v[6:7], off offset:24
	s_wait_xcnt 0x0
	v_mov_b32_e32 v7, 0
	s_wait_loadcnt 0x0
	v_readfirstlane_b32 s8, v6
	global_wb scope:SCOPE_SYS
	s_wait_storecnt 0x0
	global_store_b64 v[10:11], v[6:7], off scope:SCOPE_SYS
	s_and_b32 m0, s8, 0xffffff
	s_sendmsg sendmsg(MSG_INTERRUPT)
.LBB2_612:
	s_wait_xcnt 0x0
	s_or_b32 exec_lo, exec_lo, s3
	v_add_nc_u64_e32 v[6:7], v[14:15], v[4:5]
	s_branch .LBB2_616
.LBB2_613:                              ;   in Loop: Header=BB2_616 Depth=1
	s_wait_xcnt 0x0
	s_or_b32 exec_lo, exec_lo, s3
	s_delay_alu instid0(VALU_DEP_1)
	v_readfirstlane_b32 s3, v3
	s_cmp_eq_u32 s3, 0
	s_cbranch_scc1 .LBB2_615
; %bb.614:                              ;   in Loop: Header=BB2_616 Depth=1
	s_sleep 1
	s_cbranch_execnz .LBB2_616
	s_branch .LBB2_618
.LBB2_615:
	s_branch .LBB2_618
.LBB2_616:                              ; =>This Inner Loop Header: Depth=1
	v_mov_b32_e32 v3, 1
	s_and_saveexec_b32 s3, s2
	s_cbranch_execz .LBB2_613
; %bb.617:                              ;   in Loop: Header=BB2_616 Depth=1
	global_load_b32 v3, v[0:1], off offset:20 scope:SCOPE_SYS
	s_wait_loadcnt 0x0
	global_inv scope:SCOPE_SYS
	v_and_b32_e32 v3, 1, v3
	s_branch .LBB2_613
.LBB2_618:
	global_load_b64 v[10:11], v[6:7], off
	s_wait_xcnt 0x0
	s_and_saveexec_b32 s8, s2
	s_cbranch_execz .LBB2_622
; %bb.619:
	v_mov_b32_e32 v3, 0
	s_clause 0x2
	global_load_b64 v[0:1], v3, s[4:5] offset:40
	global_load_b64 v[16:17], v3, s[4:5] offset:24 scope:SCOPE_SYS
	global_load_b64 v[6:7], v3, s[4:5]
	s_wait_loadcnt 0x2
	v_readfirstlane_b32 s10, v0
	v_readfirstlane_b32 s11, v1
	s_add_nc_u64 s[2:3], s[10:11], 1
	s_delay_alu instid0(SALU_CYCLE_1) | instskip(NEXT) | instid1(SALU_CYCLE_1)
	s_add_nc_u64 s[6:7], s[2:3], s[6:7]
	s_cmp_eq_u64 s[6:7], 0
	s_cselect_b32 s3, s3, s7
	s_cselect_b32 s2, s2, s6
	v_mov_b32_e32 v15, s3
	s_and_b64 s[6:7], s[2:3], s[10:11]
	v_mov_b32_e32 v14, s2
	s_mul_u64 s[6:7], s[6:7], 24
	s_wait_loadcnt 0x0
	v_add_nc_u64_e32 v[0:1], s[6:7], v[6:7]
	global_store_b64 v[0:1], v[16:17], off
	global_wb scope:SCOPE_SYS
	s_wait_storecnt 0x0
	s_wait_xcnt 0x0
	global_atomic_cmpswap_b64 v[14:15], v3, v[14:17], s[4:5] offset:24 th:TH_ATOMIC_RETURN scope:SCOPE_SYS
	s_wait_loadcnt 0x0
	v_cmp_ne_u64_e32 vcc_lo, v[14:15], v[16:17]
	s_and_b32 exec_lo, exec_lo, vcc_lo
	s_cbranch_execz .LBB2_622
; %bb.620:
	s_mov_b32 s6, 0
.LBB2_621:                              ; =>This Inner Loop Header: Depth=1
	v_dual_mov_b32 v12, s2 :: v_dual_mov_b32 v13, s3
	s_sleep 1
	global_store_b64 v[0:1], v[14:15], off
	global_wb scope:SCOPE_SYS
	s_wait_storecnt 0x0
	s_wait_xcnt 0x0
	global_atomic_cmpswap_b64 v[6:7], v3, v[12:15], s[4:5] offset:24 th:TH_ATOMIC_RETURN scope:SCOPE_SYS
	s_wait_loadcnt 0x0
	v_cmp_eq_u64_e32 vcc_lo, v[6:7], v[14:15]
	v_mov_b64_e32 v[14:15], v[6:7]
	s_or_b32 s6, vcc_lo, s6
	s_delay_alu instid0(SALU_CYCLE_1)
	s_and_not1_b32 exec_lo, exec_lo, s6
	s_cbranch_execnz .LBB2_621
.LBB2_622:
	s_or_b32 exec_lo, exec_lo, s8
	v_readfirstlane_b32 s2, v33
	v_mov_b64_e32 v[0:1], 0
	s_delay_alu instid0(VALU_DEP_2)
	v_cmp_eq_u32_e64 s2, s2, v33
	s_and_saveexec_b32 s3, s2
	s_cbranch_execz .LBB2_628
; %bb.623:
	v_mov_b32_e32 v3, 0
	s_mov_b32 s6, exec_lo
	global_load_b64 v[14:15], v3, s[4:5] offset:24 scope:SCOPE_SYS
	s_wait_loadcnt 0x0
	global_inv scope:SCOPE_SYS
	s_clause 0x1
	global_load_b64 v[0:1], v3, s[4:5] offset:40
	global_load_b64 v[6:7], v3, s[4:5]
	s_wait_loadcnt 0x1
	v_and_b32_e32 v0, v0, v14
	v_and_b32_e32 v1, v1, v15
	s_delay_alu instid0(VALU_DEP_1) | instskip(SKIP_1) | instid1(VALU_DEP_1)
	v_mul_u64_e32 v[0:1], 24, v[0:1]
	s_wait_loadcnt 0x0
	v_add_nc_u64_e32 v[0:1], v[6:7], v[0:1]
	global_load_b64 v[12:13], v[0:1], off scope:SCOPE_SYS
	s_wait_xcnt 0x0
	s_wait_loadcnt 0x0
	global_atomic_cmpswap_b64 v[0:1], v3, v[12:15], s[4:5] offset:24 th:TH_ATOMIC_RETURN scope:SCOPE_SYS
	s_wait_loadcnt 0x0
	global_inv scope:SCOPE_SYS
	s_wait_xcnt 0x0
	v_cmpx_ne_u64_e64 v[0:1], v[14:15]
	s_cbranch_execz .LBB2_627
; %bb.624:
	s_mov_b32 s7, 0
.LBB2_625:                              ; =>This Inner Loop Header: Depth=1
	s_sleep 1
	s_clause 0x1
	global_load_b64 v[6:7], v3, s[4:5] offset:40
	global_load_b64 v[12:13], v3, s[4:5]
	v_mov_b64_e32 v[14:15], v[0:1]
	s_wait_loadcnt 0x1
	s_delay_alu instid0(VALU_DEP_1) | instskip(NEXT) | instid1(VALU_DEP_2)
	v_and_b32_e32 v0, v6, v14
	v_and_b32_e32 v5, v7, v15
	s_wait_loadcnt 0x0
	s_delay_alu instid0(VALU_DEP_2) | instskip(NEXT) | instid1(VALU_DEP_1)
	v_mad_nc_u64_u32 v[0:1], v0, 24, v[12:13]
	v_mad_u32 v1, v5, 24, v1
	global_load_b64 v[12:13], v[0:1], off scope:SCOPE_SYS
	s_wait_xcnt 0x0
	s_wait_loadcnt 0x0
	global_atomic_cmpswap_b64 v[0:1], v3, v[12:15], s[4:5] offset:24 th:TH_ATOMIC_RETURN scope:SCOPE_SYS
	s_wait_loadcnt 0x0
	global_inv scope:SCOPE_SYS
	v_cmp_eq_u64_e32 vcc_lo, v[0:1], v[14:15]
	s_or_b32 s7, vcc_lo, s7
	s_wait_xcnt 0x0
	s_and_not1_b32 exec_lo, exec_lo, s7
	s_cbranch_execnz .LBB2_625
; %bb.626:
	s_or_b32 exec_lo, exec_lo, s7
.LBB2_627:
	s_delay_alu instid0(SALU_CYCLE_1)
	s_or_b32 exec_lo, exec_lo, s6
.LBB2_628:
	s_delay_alu instid0(SALU_CYCLE_1)
	s_or_b32 exec_lo, exec_lo, s3
	v_readfirstlane_b32 s6, v0
	v_mov_b32_e32 v13, 0
	v_readfirstlane_b32 s7, v1
	s_mov_b32 s3, exec_lo
	s_clause 0x1
	global_load_b64 v[6:7], v13, s[4:5] offset:40
	global_load_b128 v[14:17], v13, s[4:5]
	s_wait_loadcnt 0x1
	v_and_b32_e32 v6, s6, v6
	v_and_b32_e32 v7, s7, v7
	s_delay_alu instid0(VALU_DEP_1) | instskip(SKIP_1) | instid1(VALU_DEP_1)
	v_mul_u64_e32 v[0:1], 24, v[6:7]
	s_wait_loadcnt 0x0
	v_add_nc_u64_e32 v[0:1], v[14:15], v[0:1]
	s_wait_xcnt 0x0
	s_and_saveexec_b32 s8, s2
	s_cbranch_execz .LBB2_630
; %bb.629:
	v_mov_b32_e32 v12, s3
	v_mov_b64_e32 v[20:21], 0x100000002
	s_delay_alu instid0(VALU_DEP_2)
	v_mov_b64_e32 v[18:19], v[12:13]
	global_store_b128 v[0:1], v[18:21], off offset:8
.LBB2_630:
	s_wait_xcnt 0x0
	s_or_b32 exec_lo, exec_lo, s8
	v_lshlrev_b64_e32 v[6:7], 12, v[6:7]
	s_mov_b32 s8, 0
	s_add_co_i32 s22, s22, 1
	s_mov_b32 s10, s8
	s_mov_b32 s11, s8
	;; [unrolled: 1-line block ×3, first 2 shown]
	s_lshr_b32 s3, s22, 1
	v_add_nc_u64_e32 v[6:7], v[16:17], v[6:7]
	v_mov_b64_e32 v[18:19], s[10:11]
	v_mov_b64_e32 v[16:17], s[8:9]
	v_and_or_b32 v10, 0xffffff1d, v10, 34
	v_mov_b32_e32 v12, s3
	v_readfirstlane_b32 s12, v6
	v_readfirstlane_b32 s13, v7
	s_clause 0x3
	global_store_b128 v4, v[10:13], s[12:13]
	global_store_b128 v4, v[16:19], s[12:13] offset:16
	global_store_b128 v4, v[16:19], s[12:13] offset:32
	;; [unrolled: 1-line block ×3, first 2 shown]
	s_wait_xcnt 0x0
	s_and_saveexec_b32 s3, s2
	s_cbranch_execz .LBB2_638
; %bb.631:
	v_mov_b32_e32 v3, 0
	s_mov_b32 s8, exec_lo
	s_clause 0x1
	global_load_b64 v[16:17], v3, s[4:5] offset:32 scope:SCOPE_SYS
	global_load_b64 v[4:5], v3, s[4:5] offset:40
	s_wait_loadcnt 0x0
	v_and_b32_e32 v4, s6, v4
	v_and_b32_e32 v5, s7, v5
	s_delay_alu instid0(VALU_DEP_1) | instskip(NEXT) | instid1(VALU_DEP_1)
	v_mul_u64_e32 v[4:5], 24, v[4:5]
	v_add_nc_u64_e32 v[10:11], v[14:15], v[4:5]
	v_dual_mov_b32 v14, s6 :: v_dual_mov_b32 v15, s7
	global_store_b64 v[10:11], v[16:17], off
	global_wb scope:SCOPE_SYS
	s_wait_storecnt 0x0
	s_wait_xcnt 0x0
	global_atomic_cmpswap_b64 v[6:7], v3, v[14:17], s[4:5] offset:32 th:TH_ATOMIC_RETURN scope:SCOPE_SYS
	s_wait_loadcnt 0x0
	v_cmpx_ne_u64_e64 v[6:7], v[16:17]
	s_cbranch_execz .LBB2_634
; %bb.632:
	s_mov_b32 s9, 0
.LBB2_633:                              ; =>This Inner Loop Header: Depth=1
	v_dual_mov_b32 v4, s6 :: v_dual_mov_b32 v5, s7
	s_sleep 1
	global_store_b64 v[10:11], v[6:7], off
	global_wb scope:SCOPE_SYS
	s_wait_storecnt 0x0
	s_wait_xcnt 0x0
	global_atomic_cmpswap_b64 v[4:5], v3, v[4:7], s[4:5] offset:32 th:TH_ATOMIC_RETURN scope:SCOPE_SYS
	s_wait_loadcnt 0x0
	v_cmp_eq_u64_e32 vcc_lo, v[4:5], v[6:7]
	v_mov_b64_e32 v[6:7], v[4:5]
	s_or_b32 s9, vcc_lo, s9
	s_delay_alu instid0(SALU_CYCLE_1)
	s_and_not1_b32 exec_lo, exec_lo, s9
	s_cbranch_execnz .LBB2_633
.LBB2_634:
	s_or_b32 exec_lo, exec_lo, s8
	v_mov_b32_e32 v7, 0
	s_mov_b32 s9, exec_lo
	s_mov_b32 s8, exec_lo
	v_mbcnt_lo_u32_b32 v3, s9, 0
	global_load_b64 v[4:5], v7, s[4:5] offset:16
	s_wait_xcnt 0x0
	v_cmpx_eq_u32_e32 0, v3
	s_cbranch_execz .LBB2_636
; %bb.635:
	s_bcnt1_i32_b32 s9, s9
	s_delay_alu instid0(SALU_CYCLE_1)
	v_mov_b32_e32 v6, s9
	global_wb scope:SCOPE_SYS
	s_wait_loadcnt 0x0
	s_wait_storecnt 0x0
	global_atomic_add_u64 v[4:5], v[6:7], off offset:8 scope:SCOPE_SYS
.LBB2_636:
	s_wait_xcnt 0x0
	s_or_b32 exec_lo, exec_lo, s8
	s_wait_loadcnt 0x0
	global_load_b64 v[6:7], v[4:5], off offset:16
	s_wait_loadcnt 0x0
	v_cmp_eq_u64_e32 vcc_lo, 0, v[6:7]
	s_cbranch_vccnz .LBB2_638
; %bb.637:
	global_load_b32 v4, v[4:5], off offset:24
	s_wait_xcnt 0x0
	v_mov_b32_e32 v5, 0
	s_wait_loadcnt 0x0
	v_readfirstlane_b32 s8, v4
	global_wb scope:SCOPE_SYS
	s_wait_storecnt 0x0
	global_store_b64 v[6:7], v[4:5], off scope:SCOPE_SYS
	s_and_b32 m0, s8, 0xffffff
	s_sendmsg sendmsg(MSG_INTERRUPT)
.LBB2_638:
	s_wait_xcnt 0x0
	s_or_b32 exec_lo, exec_lo, s3
	s_branch .LBB2_642
.LBB2_639:                              ;   in Loop: Header=BB2_642 Depth=1
	s_wait_xcnt 0x0
	s_or_b32 exec_lo, exec_lo, s3
	s_delay_alu instid0(VALU_DEP_1)
	v_readfirstlane_b32 s3, v3
	s_cmp_eq_u32 s3, 0
	s_cbranch_scc1 .LBB2_641
; %bb.640:                              ;   in Loop: Header=BB2_642 Depth=1
	s_sleep 1
	s_cbranch_execnz .LBB2_642
	s_branch .LBB2_644
.LBB2_641:
	s_branch .LBB2_644
.LBB2_642:                              ; =>This Inner Loop Header: Depth=1
	v_mov_b32_e32 v3, 1
	s_and_saveexec_b32 s3, s2
	s_cbranch_execz .LBB2_639
; %bb.643:                              ;   in Loop: Header=BB2_642 Depth=1
	global_load_b32 v3, v[0:1], off offset:20 scope:SCOPE_SYS
	s_wait_loadcnt 0x0
	global_inv scope:SCOPE_SYS
	v_and_b32_e32 v3, 1, v3
	s_branch .LBB2_639
.LBB2_644:
	s_and_saveexec_b32 s8, s2
	s_cbranch_execz .LBB2_648
; %bb.645:
	v_mov_b32_e32 v3, 0
	s_clause 0x2
	global_load_b64 v[0:1], v3, s[4:5] offset:40
	global_load_b64 v[12:13], v3, s[4:5] offset:24 scope:SCOPE_SYS
	global_load_b64 v[4:5], v3, s[4:5]
	s_wait_loadcnt 0x2
	v_readfirstlane_b32 s10, v0
	v_readfirstlane_b32 s11, v1
	s_add_nc_u64 s[2:3], s[10:11], 1
	s_delay_alu instid0(SALU_CYCLE_1) | instskip(NEXT) | instid1(SALU_CYCLE_1)
	s_add_nc_u64 s[6:7], s[2:3], s[6:7]
	s_cmp_eq_u64 s[6:7], 0
	s_cselect_b32 s3, s3, s7
	s_cselect_b32 s2, s2, s6
	v_mov_b32_e32 v11, s3
	s_and_b64 s[6:7], s[2:3], s[10:11]
	v_mov_b32_e32 v10, s2
	s_mul_u64 s[6:7], s[6:7], 24
	s_wait_loadcnt 0x0
	v_add_nc_u64_e32 v[0:1], s[6:7], v[4:5]
	global_store_b64 v[0:1], v[12:13], off
	global_wb scope:SCOPE_SYS
	s_wait_storecnt 0x0
	s_wait_xcnt 0x0
	global_atomic_cmpswap_b64 v[6:7], v3, v[10:13], s[4:5] offset:24 th:TH_ATOMIC_RETURN scope:SCOPE_SYS
	s_wait_loadcnt 0x0
	v_cmp_ne_u64_e32 vcc_lo, v[6:7], v[12:13]
	s_and_b32 exec_lo, exec_lo, vcc_lo
	s_cbranch_execz .LBB2_648
; %bb.646:
	s_mov_b32 s6, 0
.LBB2_647:                              ; =>This Inner Loop Header: Depth=1
	v_dual_mov_b32 v4, s2 :: v_dual_mov_b32 v5, s3
	s_sleep 1
	global_store_b64 v[0:1], v[6:7], off
	global_wb scope:SCOPE_SYS
	s_wait_storecnt 0x0
	s_wait_xcnt 0x0
	global_atomic_cmpswap_b64 v[4:5], v3, v[4:7], s[4:5] offset:24 th:TH_ATOMIC_RETURN scope:SCOPE_SYS
	s_wait_loadcnt 0x0
	v_cmp_eq_u64_e32 vcc_lo, v[4:5], v[6:7]
	v_mov_b64_e32 v[6:7], v[4:5]
	s_or_b32 s6, vcc_lo, s6
	s_delay_alu instid0(SALU_CYCLE_1)
	s_and_not1_b32 exec_lo, exec_lo, s6
	s_cbranch_execnz .LBB2_647
.LBB2_648:
	s_or_b32 exec_lo, exec_lo, s8
	s_load_b64 s[0:1], s[0:1], 0x0
	s_wait_kmcnt 0x0
	v_lshl_add_u64 v[0:1], v[8:9], 2, s[0:1]
	global_store_b32 v[0:1], v2, off
	s_endpgm
	.section	.rodata,"a",@progbits
	.p2align	6, 0x0
	.amdhsa_kernel _Z32kernel_cg_group_partition_staticILj2EEvPibS0_
		.amdhsa_group_segment_fixed_size 0
		.amdhsa_private_segment_fixed_size 0
		.amdhsa_kernarg_size 280
		.amdhsa_user_sgpr_count 2
		.amdhsa_user_sgpr_dispatch_ptr 0
		.amdhsa_user_sgpr_queue_ptr 0
		.amdhsa_user_sgpr_kernarg_segment_ptr 1
		.amdhsa_user_sgpr_dispatch_id 0
		.amdhsa_user_sgpr_kernarg_preload_length 0
		.amdhsa_user_sgpr_kernarg_preload_offset 0
		.amdhsa_user_sgpr_private_segment_size 0
		.amdhsa_wavefront_size32 1
		.amdhsa_uses_dynamic_stack 0
		.amdhsa_enable_private_segment 0
		.amdhsa_system_sgpr_workgroup_id_x 1
		.amdhsa_system_sgpr_workgroup_id_y 0
		.amdhsa_system_sgpr_workgroup_id_z 0
		.amdhsa_system_sgpr_workgroup_info 0
		.amdhsa_system_vgpr_workitem_id 2
		.amdhsa_next_free_vgpr 38
		.amdhsa_next_free_sgpr 28
		.amdhsa_named_barrier_count 0
		.amdhsa_reserve_vcc 1
		.amdhsa_float_round_mode_32 0
		.amdhsa_float_round_mode_16_64 0
		.amdhsa_float_denorm_mode_32 3
		.amdhsa_float_denorm_mode_16_64 3
		.amdhsa_fp16_overflow 0
		.amdhsa_memory_ordered 1
		.amdhsa_forward_progress 1
		.amdhsa_inst_pref_size 230
		.amdhsa_round_robin_scheduling 0
		.amdhsa_exception_fp_ieee_invalid_op 0
		.amdhsa_exception_fp_denorm_src 0
		.amdhsa_exception_fp_ieee_div_zero 0
		.amdhsa_exception_fp_ieee_overflow 0
		.amdhsa_exception_fp_ieee_underflow 0
		.amdhsa_exception_fp_ieee_inexact 0
		.amdhsa_exception_int_div_zero 0
	.end_amdhsa_kernel
	.section	.text._Z32kernel_cg_group_partition_staticILj2EEvPibS0_,"axG",@progbits,_Z32kernel_cg_group_partition_staticILj2EEvPibS0_,comdat
.Lfunc_end2:
	.size	_Z32kernel_cg_group_partition_staticILj2EEvPibS0_, .Lfunc_end2-_Z32kernel_cg_group_partition_staticILj2EEvPibS0_
                                        ; -- End function
	.set _Z32kernel_cg_group_partition_staticILj2EEvPibS0_.num_vgpr, 38
	.set _Z32kernel_cg_group_partition_staticILj2EEvPibS0_.num_agpr, 0
	.set _Z32kernel_cg_group_partition_staticILj2EEvPibS0_.numbered_sgpr, 28
	.set _Z32kernel_cg_group_partition_staticILj2EEvPibS0_.num_named_barrier, 0
	.set _Z32kernel_cg_group_partition_staticILj2EEvPibS0_.private_seg_size, 0
	.set _Z32kernel_cg_group_partition_staticILj2EEvPibS0_.uses_vcc, 1
	.set _Z32kernel_cg_group_partition_staticILj2EEvPibS0_.uses_flat_scratch, 0
	.set _Z32kernel_cg_group_partition_staticILj2EEvPibS0_.has_dyn_sized_stack, 0
	.set _Z32kernel_cg_group_partition_staticILj2EEvPibS0_.has_recursion, 0
	.set _Z32kernel_cg_group_partition_staticILj2EEvPibS0_.has_indirect_call, 0
	.section	.AMDGPU.csdata,"",@progbits
; Kernel info:
; codeLenInByte = 29380
; TotalNumSgprs: 30
; NumVgprs: 38
; ScratchSize: 0
; MemoryBound: 0
; FloatMode: 240
; IeeeMode: 1
; LDSByteSize: 0 bytes/workgroup (compile time only)
; SGPRBlocks: 0
; VGPRBlocks: 2
; NumSGPRsForWavesPerEU: 30
; NumVGPRsForWavesPerEU: 38
; NamedBarCnt: 0
; Occupancy: 16
; WaveLimiterHint : 1
; COMPUTE_PGM_RSRC2:SCRATCH_EN: 0
; COMPUTE_PGM_RSRC2:USER_SGPR: 2
; COMPUTE_PGM_RSRC2:TRAP_HANDLER: 0
; COMPUTE_PGM_RSRC2:TGID_X_EN: 1
; COMPUTE_PGM_RSRC2:TGID_Y_EN: 0
; COMPUTE_PGM_RSRC2:TGID_Z_EN: 0
; COMPUTE_PGM_RSRC2:TIDIG_COMP_CNT: 2
	.section	.text._Z32kernel_cg_group_partition_staticILj4EEvPibS0_,"axG",@progbits,_Z32kernel_cg_group_partition_staticILj4EEvPibS0_,comdat
	.protected	_Z32kernel_cg_group_partition_staticILj4EEvPibS0_ ; -- Begin function _Z32kernel_cg_group_partition_staticILj4EEvPibS0_
	.globl	_Z32kernel_cg_group_partition_staticILj4EEvPibS0_
	.p2align	8
	.type	_Z32kernel_cg_group_partition_staticILj4EEvPibS0_,@function
_Z32kernel_cg_group_partition_staticILj4EEvPibS0_: ; @_Z32kernel_cg_group_partition_staticILj4EEvPibS0_
; %bb.0:
	s_mov_b64 s[2:3], src_shared_base
	s_clause 0x1
	s_load_b64 s[4:5], s[0:1], 0x24
	s_load_b32 s2, s[0:1], 0x8
	v_bfe_u32 v1, v0, 10, 10
	v_bfe_u32 v2, v0, 20, 10
	s_load_b64 s[6:7], s[0:1], 0x10
	v_and_b32_e32 v0, 0x3ff, v0
	s_wait_kmcnt 0x0
	s_lshr_b32 s8, s4, 16
	s_and_b32 s4, s4, 0xffff
	v_mad_u32_u24 v1, v2, s8, v1
	s_and_b32 s2, 1, s2
	s_and_b32 s5, s5, 0xffff
	s_cmp_lg_u32 0, -1
	s_mul_i32 s22, s8, s4
	v_mad_u32 v28, v1, s4, v0
	s_cselect_b32 s9, 0, 0
	s_cselect_b32 s3, s3, 0
	s_cmp_eq_u32 s2, 1
	s_mul_i32 s22, s22, s5
	s_cselect_b32 s5, s7, s3
	s_cselect_b32 s4, s6, s9
	s_cmp_lt_u32 s22, 2
	s_mov_b32 s3, 0
	s_delay_alu instid0(VALU_DEP_1)
	v_mov_b32_e32 v31, v28
	s_cbranch_scc1 .LBB3_6
; %bb.1:
	v_dual_ashrrev_i32 v29, 31, v28 :: v_dual_mov_b32 v31, v28
	s_mov_b32 s6, s22
	s_delay_alu instid0(VALU_DEP_1)
	v_lshl_add_u64 v[0:1], v[28:29], 2, s[4:5]
.LBB3_2:                                ; =>This Inner Loop Header: Depth=1
	s_lshr_b32 s2, s6, 1
	s_mov_b32 s7, exec_lo
	flat_store_b32 v[0:1], v31
	s_wait_storecnt_dscnt 0x0
	s_barrier_signal -1
	s_barrier_wait -1
	s_wait_xcnt 0x0
	v_cmpx_gt_i32_e64 s2, v28
	s_cbranch_execz .LBB3_4
; %bb.3:                                ;   in Loop: Header=BB3_2 Depth=1
	v_lshl_add_u64 v[2:3], s[2:3], 2, v[0:1]
	flat_load_b32 v2, v[2:3]
	s_wait_loadcnt_dscnt 0x0
	v_add_nc_u32_e32 v31, v2, v31
.LBB3_4:                                ;   in Loop: Header=BB3_2 Depth=1
	s_or_b32 exec_lo, exec_lo, s7
	s_cmp_gt_u32 s6, 3
	s_barrier_signal -1
	s_barrier_wait -1
	s_cbranch_scc0 .LBB3_6
; %bb.5:                                ;   in Loop: Header=BB3_2 Depth=1
	s_mov_b32 s6, s2
	s_branch .LBB3_2
.LBB3_6:
	v_cmp_eq_u32_e64 s2, 0, v28
	s_add_nc_u64 s[6:7], s[0:1], 24
	s_and_saveexec_b32 s23, s2
	s_cbranch_execz .LBB3_403
; %bb.7:
	s_load_b64 s[8:9], s[6:7], 0x50
	v_mbcnt_lo_u32_b32 v29, -1, 0
	v_mov_b64_e32 v[2:3], 0
	s_delay_alu instid0(VALU_DEP_2) | instskip(NEXT) | instid1(VALU_DEP_1)
	v_readfirstlane_b32 s3, v29
	v_cmp_eq_u32_e64 s3, s3, v29
	s_and_saveexec_b32 s10, s3
	s_cbranch_execz .LBB3_13
; %bb.8:
	v_mov_b32_e32 v0, 0
	s_mov_b32 s11, exec_lo
	s_wait_kmcnt 0x0
	global_load_b64 v[4:5], v0, s[8:9] offset:24 scope:SCOPE_SYS
	s_wait_loadcnt 0x0
	global_inv scope:SCOPE_SYS
	s_clause 0x1
	global_load_b64 v[2:3], v0, s[8:9] offset:40
	global_load_b64 v[6:7], v0, s[8:9]
	s_wait_loadcnt 0x1
	v_and_b32_e32 v2, v2, v4
	v_and_b32_e32 v3, v3, v5
	s_delay_alu instid0(VALU_DEP_1) | instskip(SKIP_1) | instid1(VALU_DEP_1)
	v_mul_u64_e32 v[2:3], 24, v[2:3]
	s_wait_loadcnt 0x0
	v_add_nc_u64_e32 v[2:3], v[6:7], v[2:3]
	global_load_b64 v[2:3], v[2:3], off scope:SCOPE_SYS
	s_wait_xcnt 0x0
	s_wait_loadcnt 0x0
	global_atomic_cmpswap_b64 v[2:3], v0, v[2:5], s[8:9] offset:24 th:TH_ATOMIC_RETURN scope:SCOPE_SYS
	s_wait_loadcnt 0x0
	global_inv scope:SCOPE_SYS
	s_wait_xcnt 0x0
	v_cmpx_ne_u64_e64 v[2:3], v[4:5]
	s_cbranch_execz .LBB3_12
; %bb.9:
	s_mov_b32 s12, 0
.LBB3_10:                               ; =>This Inner Loop Header: Depth=1
	s_sleep 1
	s_clause 0x1
	global_load_b64 v[6:7], v0, s[8:9] offset:40
	global_load_b64 v[8:9], v0, s[8:9]
	v_mov_b64_e32 v[4:5], v[2:3]
	s_wait_loadcnt 0x1
	s_delay_alu instid0(VALU_DEP_1) | instskip(SKIP_1) | instid1(VALU_DEP_1)
	v_and_b32_e32 v1, v6, v4
	s_wait_loadcnt 0x0
	v_mad_nc_u64_u32 v[2:3], v1, 24, v[8:9]
	s_delay_alu instid0(VALU_DEP_3) | instskip(NEXT) | instid1(VALU_DEP_1)
	v_and_b32_e32 v1, v7, v5
	v_mad_u32 v3, v1, 24, v3
	global_load_b64 v[2:3], v[2:3], off scope:SCOPE_SYS
	s_wait_xcnt 0x0
	s_wait_loadcnt 0x0
	global_atomic_cmpswap_b64 v[2:3], v0, v[2:5], s[8:9] offset:24 th:TH_ATOMIC_RETURN scope:SCOPE_SYS
	s_wait_loadcnt 0x0
	global_inv scope:SCOPE_SYS
	v_cmp_eq_u64_e32 vcc_lo, v[2:3], v[4:5]
	s_or_b32 s12, vcc_lo, s12
	s_wait_xcnt 0x0
	s_and_not1_b32 exec_lo, exec_lo, s12
	s_cbranch_execnz .LBB3_10
; %bb.11:
	s_or_b32 exec_lo, exec_lo, s12
.LBB3_12:
	s_delay_alu instid0(SALU_CYCLE_1)
	s_or_b32 exec_lo, exec_lo, s11
.LBB3_13:
	s_delay_alu instid0(SALU_CYCLE_1)
	s_or_b32 exec_lo, exec_lo, s10
	v_readfirstlane_b32 s10, v2
	v_mov_b32_e32 v1, 0
	v_readfirstlane_b32 s11, v3
	s_mov_b32 s12, exec_lo
	s_wait_kmcnt 0x0
	s_clause 0x1
	global_load_b64 v[8:9], v1, s[8:9] offset:40
	global_load_b128 v[4:7], v1, s[8:9]
	s_wait_loadcnt 0x1
	v_and_b32_e32 v10, s10, v8
	v_and_b32_e32 v11, s11, v9
	s_delay_alu instid0(VALU_DEP_1) | instskip(SKIP_1) | instid1(VALU_DEP_1)
	v_mul_u64_e32 v[2:3], 24, v[10:11]
	s_wait_loadcnt 0x0
	v_add_nc_u64_e32 v[8:9], v[4:5], v[2:3]
	s_and_saveexec_b32 s13, s3
	s_cbranch_execz .LBB3_15
; %bb.14:
	v_mov_b64_e32 v[2:3], 0x100000002
	v_mov_b32_e32 v0, s12
	global_store_b128 v[8:9], v[0:3], off offset:8
.LBB3_15:
	s_wait_xcnt 0x0
	s_or_b32 exec_lo, exec_lo, s13
	v_lshlrev_b64_e32 v[2:3], 12, v[10:11]
	s_mov_b32 s12, 0
	v_dual_lshlrev_b32 v0, 6, v29 :: v_dual_mov_b32 v10, 33
	s_mov_b32 s14, s12
	s_mov_b32 s15, s12
	;; [unrolled: 1-line block ×3, first 2 shown]
	s_delay_alu instid0(VALU_DEP_2)
	v_add_nc_u64_e32 v[6:7], v[6:7], v[2:3]
	v_mov_b64_e32 v[16:17], s[14:15]
	v_mov_b64_e32 v[14:15], s[12:13]
	v_dual_mov_b32 v11, v1 :: v_dual_mov_b32 v12, v1
	v_mov_b32_e32 v13, v1
	v_readfirstlane_b32 s16, v6
	v_readfirstlane_b32 s17, v7
	s_clause 0x3
	global_store_b128 v0, v[10:13], s[16:17]
	global_store_b128 v0, v[14:17], s[16:17] offset:16
	global_store_b128 v0, v[14:17], s[16:17] offset:32
	;; [unrolled: 1-line block ×3, first 2 shown]
	s_wait_xcnt 0x0
	s_and_saveexec_b32 s12, s3
	s_cbranch_execz .LBB3_23
; %bb.16:
	v_dual_mov_b32 v12, 0 :: v_dual_mov_b32 v15, s11
	s_mov_b32 s13, exec_lo
	s_clause 0x1
	global_load_b64 v[16:17], v12, s[8:9] offset:32 scope:SCOPE_SYS
	global_load_b64 v[2:3], v12, s[8:9] offset:40
	s_wait_loadcnt 0x0
	v_dual_mov_b32 v14, s10 :: v_dual_bitop2_b32 v3, s11, v3 bitop3:0x40
	v_and_b32_e32 v2, s10, v2
	s_delay_alu instid0(VALU_DEP_1) | instskip(NEXT) | instid1(VALU_DEP_1)
	v_mul_u64_e32 v[2:3], 24, v[2:3]
	v_add_nc_u64_e32 v[10:11], v[4:5], v[2:3]
	global_store_b64 v[10:11], v[16:17], off
	global_wb scope:SCOPE_SYS
	s_wait_storecnt 0x0
	s_wait_xcnt 0x0
	global_atomic_cmpswap_b64 v[4:5], v12, v[14:17], s[8:9] offset:32 th:TH_ATOMIC_RETURN scope:SCOPE_SYS
	s_wait_loadcnt 0x0
	v_cmpx_ne_u64_e64 v[4:5], v[16:17]
	s_cbranch_execz .LBB3_19
; %bb.17:
	s_mov_b32 s14, 0
.LBB3_18:                               ; =>This Inner Loop Header: Depth=1
	v_dual_mov_b32 v2, s10 :: v_dual_mov_b32 v3, s11
	s_sleep 1
	global_store_b64 v[10:11], v[4:5], off
	global_wb scope:SCOPE_SYS
	s_wait_storecnt 0x0
	s_wait_xcnt 0x0
	global_atomic_cmpswap_b64 v[2:3], v12, v[2:5], s[8:9] offset:32 th:TH_ATOMIC_RETURN scope:SCOPE_SYS
	s_wait_loadcnt 0x0
	v_cmp_eq_u64_e32 vcc_lo, v[2:3], v[4:5]
	v_mov_b64_e32 v[4:5], v[2:3]
	s_or_b32 s14, vcc_lo, s14
	s_delay_alu instid0(SALU_CYCLE_1)
	s_and_not1_b32 exec_lo, exec_lo, s14
	s_cbranch_execnz .LBB3_18
.LBB3_19:
	s_or_b32 exec_lo, exec_lo, s13
	v_mov_b32_e32 v5, 0
	s_mov_b32 s14, exec_lo
	s_mov_b32 s13, exec_lo
	v_mbcnt_lo_u32_b32 v4, s14, 0
	global_load_b64 v[2:3], v5, s[8:9] offset:16
	s_wait_xcnt 0x0
	v_cmpx_eq_u32_e32 0, v4
	s_cbranch_execz .LBB3_21
; %bb.20:
	s_bcnt1_i32_b32 s14, s14
	s_delay_alu instid0(SALU_CYCLE_1)
	v_mov_b32_e32 v4, s14
	global_wb scope:SCOPE_SYS
	s_wait_loadcnt 0x0
	s_wait_storecnt 0x0
	global_atomic_add_u64 v[2:3], v[4:5], off offset:8 scope:SCOPE_SYS
.LBB3_21:
	s_wait_xcnt 0x0
	s_or_b32 exec_lo, exec_lo, s13
	s_wait_loadcnt 0x0
	global_load_b64 v[4:5], v[2:3], off offset:16
	s_wait_loadcnt 0x0
	v_cmp_eq_u64_e32 vcc_lo, 0, v[4:5]
	s_cbranch_vccnz .LBB3_23
; %bb.22:
	global_load_b32 v2, v[2:3], off offset:24
	s_wait_xcnt 0x0
	v_mov_b32_e32 v3, 0
	s_wait_loadcnt 0x0
	v_readfirstlane_b32 s13, v2
	global_wb scope:SCOPE_SYS
	s_wait_storecnt 0x0
	global_store_b64 v[4:5], v[2:3], off scope:SCOPE_SYS
	s_and_b32 m0, s13, 0xffffff
	s_sendmsg sendmsg(MSG_INTERRUPT)
.LBB3_23:
	s_wait_xcnt 0x0
	s_or_b32 exec_lo, exec_lo, s12
	v_add_nc_u64_e32 v[2:3], v[6:7], v[0:1]
	s_branch .LBB3_27
.LBB3_24:                               ;   in Loop: Header=BB3_27 Depth=1
	s_wait_xcnt 0x0
	s_or_b32 exec_lo, exec_lo, s12
	s_delay_alu instid0(VALU_DEP_1)
	v_readfirstlane_b32 s12, v1
	s_cmp_eq_u32 s12, 0
	s_cbranch_scc1 .LBB3_26
; %bb.25:                               ;   in Loop: Header=BB3_27 Depth=1
	s_sleep 1
	s_cbranch_execnz .LBB3_27
	s_branch .LBB3_29
.LBB3_26:
	s_branch .LBB3_29
.LBB3_27:                               ; =>This Inner Loop Header: Depth=1
	v_mov_b32_e32 v1, 1
	s_and_saveexec_b32 s12, s3
	s_cbranch_execz .LBB3_24
; %bb.28:                               ;   in Loop: Header=BB3_27 Depth=1
	global_load_b32 v1, v[8:9], off offset:20 scope:SCOPE_SYS
	s_wait_loadcnt 0x0
	global_inv scope:SCOPE_SYS
	v_and_b32_e32 v1, 1, v1
	s_branch .LBB3_24
.LBB3_29:
	global_load_b64 v[2:3], v[2:3], off
	s_wait_xcnt 0x0
	s_and_saveexec_b32 s12, s3
	s_cbranch_execz .LBB3_33
; %bb.30:
	v_mov_b32_e32 v1, 0
	s_clause 0x2
	global_load_b64 v[4:5], v1, s[8:9] offset:40
	global_load_b64 v[12:13], v1, s[8:9] offset:24 scope:SCOPE_SYS
	global_load_b64 v[6:7], v1, s[8:9]
	s_wait_loadcnt 0x2
	v_readfirstlane_b32 s14, v4
	v_readfirstlane_b32 s15, v5
	s_add_nc_u64 s[16:17], s[14:15], 1
	s_delay_alu instid0(SALU_CYCLE_1) | instskip(NEXT) | instid1(SALU_CYCLE_1)
	s_add_nc_u64 s[10:11], s[16:17], s[10:11]
	s_cmp_eq_u64 s[10:11], 0
	s_cselect_b32 s11, s17, s11
	s_cselect_b32 s10, s16, s10
	v_mov_b32_e32 v11, s11
	s_and_b64 s[14:15], s[10:11], s[14:15]
	v_mov_b32_e32 v10, s10
	s_mul_u64 s[14:15], s[14:15], 24
	s_wait_loadcnt 0x0
	v_add_nc_u64_e32 v[8:9], s[14:15], v[6:7]
	global_store_b64 v[8:9], v[12:13], off
	global_wb scope:SCOPE_SYS
	s_wait_storecnt 0x0
	s_wait_xcnt 0x0
	global_atomic_cmpswap_b64 v[6:7], v1, v[10:13], s[8:9] offset:24 th:TH_ATOMIC_RETURN scope:SCOPE_SYS
	s_wait_loadcnt 0x0
	v_cmp_ne_u64_e32 vcc_lo, v[6:7], v[12:13]
	s_and_b32 exec_lo, exec_lo, vcc_lo
	s_cbranch_execz .LBB3_33
; %bb.31:
	s_mov_b32 s3, 0
.LBB3_32:                               ; =>This Inner Loop Header: Depth=1
	v_dual_mov_b32 v4, s10 :: v_dual_mov_b32 v5, s11
	s_sleep 1
	global_store_b64 v[8:9], v[6:7], off
	global_wb scope:SCOPE_SYS
	s_wait_storecnt 0x0
	s_wait_xcnt 0x0
	global_atomic_cmpswap_b64 v[4:5], v1, v[4:7], s[8:9] offset:24 th:TH_ATOMIC_RETURN scope:SCOPE_SYS
	s_wait_loadcnt 0x0
	v_cmp_eq_u64_e32 vcc_lo, v[4:5], v[6:7]
	v_mov_b64_e32 v[6:7], v[4:5]
	s_or_b32 s3, vcc_lo, s3
	s_delay_alu instid0(SALU_CYCLE_1)
	s_and_not1_b32 exec_lo, exec_lo, s3
	s_cbranch_execnz .LBB3_32
.LBB3_33:
	s_or_b32 exec_lo, exec_lo, s12
	s_get_pc_i64 s[10:11]
	s_add_nc_u64 s[10:11], s[10:11], .str.8@rel64+4
	s_delay_alu instid0(SALU_CYCLE_1)
	s_cmp_lg_u64 s[10:11], 0
	s_cbranch_scc0 .LBB3_112
; %bb.34:
	v_mov_b64_e32 v[10:11], 0x100000002
	s_wait_loadcnt 0x0
	v_dual_mov_b32 v9, 0 :: v_dual_bitop2_b32 v30, 2, v2 bitop3:0x40
	v_dual_mov_b32 v5, v3 :: v_dual_bitop2_b32 v4, -3, v2 bitop3:0x40
	s_mov_b64 s[12:13], 0x4d
	s_branch .LBB3_36
.LBB3_35:                               ;   in Loop: Header=BB3_36 Depth=1
	s_or_b32 exec_lo, exec_lo, s18
	s_sub_nc_u64 s[12:13], s[12:13], s[14:15]
	s_add_nc_u64 s[10:11], s[10:11], s[14:15]
	s_cmp_lg_u64 s[12:13], 0
	s_cbranch_scc0 .LBB3_111
.LBB3_36:                               ; =>This Loop Header: Depth=1
                                        ;     Child Loop BB3_39 Depth 2
                                        ;     Child Loop BB3_46 Depth 2
	;; [unrolled: 1-line block ×11, first 2 shown]
	v_min_u64 v[6:7], s[12:13], 56
	v_cmp_gt_u64_e64 s3, s[12:13], 7
	s_and_b32 vcc_lo, exec_lo, s3
	v_readfirstlane_b32 s14, v6
	v_readfirstlane_b32 s15, v7
	s_cbranch_vccnz .LBB3_41
; %bb.37:                               ;   in Loop: Header=BB3_36 Depth=1
	v_mov_b64_e32 v[6:7], 0
	s_cmp_eq_u64 s[12:13], 0
	s_cbranch_scc1 .LBB3_40
; %bb.38:                               ;   in Loop: Header=BB3_36 Depth=1
	s_mov_b64 s[16:17], 0
	s_mov_b64 s[18:19], 0
.LBB3_39:                               ;   Parent Loop BB3_36 Depth=1
                                        ; =>  This Inner Loop Header: Depth=2
	s_wait_xcnt 0x0
	s_add_nc_u64 s[20:21], s[10:11], s[18:19]
	s_add_nc_u64 s[18:19], s[18:19], 1
	global_load_u8 v1, v9, s[20:21]
	s_cmp_lg_u32 s14, s18
	s_wait_loadcnt 0x0
	v_and_b32_e32 v8, 0xffff, v1
	s_delay_alu instid0(VALU_DEP_1) | instskip(SKIP_1) | instid1(VALU_DEP_1)
	v_lshlrev_b64_e32 v[12:13], s16, v[8:9]
	s_add_nc_u64 s[16:17], s[16:17], 8
	v_or_b32_e32 v6, v12, v6
	s_delay_alu instid0(VALU_DEP_2)
	v_or_b32_e32 v7, v13, v7
	s_cbranch_scc1 .LBB3_39
.LBB3_40:                               ;   in Loop: Header=BB3_36 Depth=1
	s_mov_b64 s[18:19], s[10:11]
	s_mov_b32 s3, 0
	s_cbranch_execz .LBB3_42
	s_branch .LBB3_43
.LBB3_41:                               ;   in Loop: Header=BB3_36 Depth=1
	s_add_nc_u64 s[18:19], s[10:11], 8
	s_mov_b32 s3, 0
.LBB3_42:                               ;   in Loop: Header=BB3_36 Depth=1
	global_load_b64 v[6:7], v9, s[10:11]
	s_add_co_i32 s3, s14, -8
.LBB3_43:                               ;   in Loop: Header=BB3_36 Depth=1
	s_delay_alu instid0(SALU_CYCLE_1)
	s_cmp_gt_u32 s3, 7
	s_cbranch_scc1 .LBB3_48
; %bb.44:                               ;   in Loop: Header=BB3_36 Depth=1
	v_mov_b64_e32 v[12:13], 0
	s_cmp_eq_u32 s3, 0
	s_cbranch_scc1 .LBB3_47
; %bb.45:                               ;   in Loop: Header=BB3_36 Depth=1
	s_mov_b64 s[16:17], 0
	s_wait_xcnt 0x0
	s_mov_b64 s[20:21], 0
.LBB3_46:                               ;   Parent Loop BB3_36 Depth=1
                                        ; =>  This Inner Loop Header: Depth=2
	s_wait_xcnt 0x0
	s_add_nc_u64 s[24:25], s[18:19], s[20:21]
	s_add_nc_u64 s[20:21], s[20:21], 1
	global_load_u8 v1, v9, s[24:25]
	s_cmp_lg_u32 s3, s20
	s_wait_loadcnt 0x0
	v_and_b32_e32 v8, 0xffff, v1
	s_delay_alu instid0(VALU_DEP_1) | instskip(SKIP_1) | instid1(VALU_DEP_1)
	v_lshlrev_b64_e32 v[14:15], s16, v[8:9]
	s_add_nc_u64 s[16:17], s[16:17], 8
	v_or_b32_e32 v12, v14, v12
	s_delay_alu instid0(VALU_DEP_2)
	v_or_b32_e32 v13, v15, v13
	s_cbranch_scc1 .LBB3_46
.LBB3_47:                               ;   in Loop: Header=BB3_36 Depth=1
	s_wait_xcnt 0x0
	s_mov_b64 s[16:17], s[18:19]
	s_mov_b32 s24, 0
	s_cbranch_execz .LBB3_49
	s_branch .LBB3_50
.LBB3_48:                               ;   in Loop: Header=BB3_36 Depth=1
	s_add_nc_u64 s[16:17], s[18:19], 8
	s_wait_xcnt 0x0
                                        ; implicit-def: $vgpr12_vgpr13
	s_mov_b32 s24, 0
.LBB3_49:                               ;   in Loop: Header=BB3_36 Depth=1
	global_load_b64 v[12:13], v9, s[18:19]
	s_add_co_i32 s24, s3, -8
.LBB3_50:                               ;   in Loop: Header=BB3_36 Depth=1
	s_delay_alu instid0(SALU_CYCLE_1)
	s_cmp_gt_u32 s24, 7
	s_cbranch_scc1 .LBB3_55
; %bb.51:                               ;   in Loop: Header=BB3_36 Depth=1
	v_mov_b64_e32 v[14:15], 0
	s_cmp_eq_u32 s24, 0
	s_cbranch_scc1 .LBB3_54
; %bb.52:                               ;   in Loop: Header=BB3_36 Depth=1
	s_wait_xcnt 0x0
	s_mov_b64 s[18:19], 0
	s_mov_b64 s[20:21], 0
.LBB3_53:                               ;   Parent Loop BB3_36 Depth=1
                                        ; =>  This Inner Loop Header: Depth=2
	s_wait_xcnt 0x0
	s_add_nc_u64 s[26:27], s[16:17], s[20:21]
	s_add_nc_u64 s[20:21], s[20:21], 1
	global_load_u8 v1, v9, s[26:27]
	s_cmp_lg_u32 s24, s20
	s_wait_loadcnt 0x0
	v_and_b32_e32 v8, 0xffff, v1
	s_delay_alu instid0(VALU_DEP_1) | instskip(SKIP_1) | instid1(VALU_DEP_1)
	v_lshlrev_b64_e32 v[16:17], s18, v[8:9]
	s_add_nc_u64 s[18:19], s[18:19], 8
	v_or_b32_e32 v14, v16, v14
	s_delay_alu instid0(VALU_DEP_2)
	v_or_b32_e32 v15, v17, v15
	s_cbranch_scc1 .LBB3_53
.LBB3_54:                               ;   in Loop: Header=BB3_36 Depth=1
	s_wait_xcnt 0x0
	s_mov_b64 s[18:19], s[16:17]
	s_mov_b32 s3, 0
	s_cbranch_execz .LBB3_56
	s_branch .LBB3_57
.LBB3_55:                               ;   in Loop: Header=BB3_36 Depth=1
	s_wait_xcnt 0x0
	s_add_nc_u64 s[18:19], s[16:17], 8
	s_mov_b32 s3, 0
.LBB3_56:                               ;   in Loop: Header=BB3_36 Depth=1
	global_load_b64 v[14:15], v9, s[16:17]
	s_add_co_i32 s3, s24, -8
.LBB3_57:                               ;   in Loop: Header=BB3_36 Depth=1
	s_delay_alu instid0(SALU_CYCLE_1)
	s_cmp_gt_u32 s3, 7
	s_cbranch_scc1 .LBB3_62
; %bb.58:                               ;   in Loop: Header=BB3_36 Depth=1
	v_mov_b64_e32 v[16:17], 0
	s_cmp_eq_u32 s3, 0
	s_cbranch_scc1 .LBB3_61
; %bb.59:                               ;   in Loop: Header=BB3_36 Depth=1
	s_wait_xcnt 0x0
	s_mov_b64 s[16:17], 0
	s_mov_b64 s[20:21], 0
.LBB3_60:                               ;   Parent Loop BB3_36 Depth=1
                                        ; =>  This Inner Loop Header: Depth=2
	s_wait_xcnt 0x0
	s_add_nc_u64 s[24:25], s[18:19], s[20:21]
	s_add_nc_u64 s[20:21], s[20:21], 1
	global_load_u8 v1, v9, s[24:25]
	s_cmp_lg_u32 s3, s20
	s_wait_loadcnt 0x0
	v_and_b32_e32 v8, 0xffff, v1
	s_delay_alu instid0(VALU_DEP_1) | instskip(SKIP_1) | instid1(VALU_DEP_1)
	v_lshlrev_b64_e32 v[18:19], s16, v[8:9]
	s_add_nc_u64 s[16:17], s[16:17], 8
	v_or_b32_e32 v16, v18, v16
	s_delay_alu instid0(VALU_DEP_2)
	v_or_b32_e32 v17, v19, v17
	s_cbranch_scc1 .LBB3_60
.LBB3_61:                               ;   in Loop: Header=BB3_36 Depth=1
	s_wait_xcnt 0x0
	s_mov_b64 s[16:17], s[18:19]
	s_mov_b32 s24, 0
	s_cbranch_execz .LBB3_63
	s_branch .LBB3_64
.LBB3_62:                               ;   in Loop: Header=BB3_36 Depth=1
	s_wait_xcnt 0x0
	s_add_nc_u64 s[16:17], s[18:19], 8
                                        ; implicit-def: $vgpr16_vgpr17
	s_mov_b32 s24, 0
.LBB3_63:                               ;   in Loop: Header=BB3_36 Depth=1
	global_load_b64 v[16:17], v9, s[18:19]
	s_add_co_i32 s24, s3, -8
.LBB3_64:                               ;   in Loop: Header=BB3_36 Depth=1
	s_delay_alu instid0(SALU_CYCLE_1)
	s_cmp_gt_u32 s24, 7
	s_cbranch_scc1 .LBB3_69
; %bb.65:                               ;   in Loop: Header=BB3_36 Depth=1
	v_mov_b64_e32 v[18:19], 0
	s_cmp_eq_u32 s24, 0
	s_cbranch_scc1 .LBB3_68
; %bb.66:                               ;   in Loop: Header=BB3_36 Depth=1
	s_wait_xcnt 0x0
	s_mov_b64 s[18:19], 0
	s_mov_b64 s[20:21], 0
.LBB3_67:                               ;   Parent Loop BB3_36 Depth=1
                                        ; =>  This Inner Loop Header: Depth=2
	s_wait_xcnt 0x0
	s_add_nc_u64 s[26:27], s[16:17], s[20:21]
	s_add_nc_u64 s[20:21], s[20:21], 1
	global_load_u8 v1, v9, s[26:27]
	s_cmp_lg_u32 s24, s20
	s_wait_loadcnt 0x0
	v_and_b32_e32 v8, 0xffff, v1
	s_delay_alu instid0(VALU_DEP_1) | instskip(SKIP_1) | instid1(VALU_DEP_1)
	v_lshlrev_b64_e32 v[20:21], s18, v[8:9]
	s_add_nc_u64 s[18:19], s[18:19], 8
	v_or_b32_e32 v18, v20, v18
	s_delay_alu instid0(VALU_DEP_2)
	v_or_b32_e32 v19, v21, v19
	s_cbranch_scc1 .LBB3_67
.LBB3_68:                               ;   in Loop: Header=BB3_36 Depth=1
	s_wait_xcnt 0x0
	s_mov_b64 s[18:19], s[16:17]
	s_mov_b32 s3, 0
	s_cbranch_execz .LBB3_70
	s_branch .LBB3_71
.LBB3_69:                               ;   in Loop: Header=BB3_36 Depth=1
	s_wait_xcnt 0x0
	s_add_nc_u64 s[18:19], s[16:17], 8
	s_mov_b32 s3, 0
.LBB3_70:                               ;   in Loop: Header=BB3_36 Depth=1
	global_load_b64 v[18:19], v9, s[16:17]
	s_add_co_i32 s3, s24, -8
.LBB3_71:                               ;   in Loop: Header=BB3_36 Depth=1
	s_delay_alu instid0(SALU_CYCLE_1)
	s_cmp_gt_u32 s3, 7
	s_cbranch_scc1 .LBB3_76
; %bb.72:                               ;   in Loop: Header=BB3_36 Depth=1
	v_mov_b64_e32 v[20:21], 0
	s_cmp_eq_u32 s3, 0
	s_cbranch_scc1 .LBB3_75
; %bb.73:                               ;   in Loop: Header=BB3_36 Depth=1
	s_wait_xcnt 0x0
	s_mov_b64 s[16:17], 0
	s_mov_b64 s[20:21], 0
.LBB3_74:                               ;   Parent Loop BB3_36 Depth=1
                                        ; =>  This Inner Loop Header: Depth=2
	s_wait_xcnt 0x0
	s_add_nc_u64 s[24:25], s[18:19], s[20:21]
	s_add_nc_u64 s[20:21], s[20:21], 1
	global_load_u8 v1, v9, s[24:25]
	s_cmp_lg_u32 s3, s20
	s_wait_loadcnt 0x0
	v_and_b32_e32 v8, 0xffff, v1
	s_delay_alu instid0(VALU_DEP_1) | instskip(SKIP_1) | instid1(VALU_DEP_1)
	v_lshlrev_b64_e32 v[22:23], s16, v[8:9]
	s_add_nc_u64 s[16:17], s[16:17], 8
	v_or_b32_e32 v20, v22, v20
	s_delay_alu instid0(VALU_DEP_2)
	v_or_b32_e32 v21, v23, v21
	s_cbranch_scc1 .LBB3_74
.LBB3_75:                               ;   in Loop: Header=BB3_36 Depth=1
	s_wait_xcnt 0x0
	s_mov_b64 s[16:17], s[18:19]
	s_mov_b32 s24, 0
	s_cbranch_execz .LBB3_77
	s_branch .LBB3_78
.LBB3_76:                               ;   in Loop: Header=BB3_36 Depth=1
	s_wait_xcnt 0x0
	s_add_nc_u64 s[16:17], s[18:19], 8
                                        ; implicit-def: $vgpr20_vgpr21
	s_mov_b32 s24, 0
.LBB3_77:                               ;   in Loop: Header=BB3_36 Depth=1
	global_load_b64 v[20:21], v9, s[18:19]
	s_add_co_i32 s24, s3, -8
.LBB3_78:                               ;   in Loop: Header=BB3_36 Depth=1
	s_delay_alu instid0(SALU_CYCLE_1)
	s_cmp_gt_u32 s24, 7
	s_cbranch_scc1 .LBB3_83
; %bb.79:                               ;   in Loop: Header=BB3_36 Depth=1
	v_mov_b64_e32 v[22:23], 0
	s_cmp_eq_u32 s24, 0
	s_cbranch_scc1 .LBB3_82
; %bb.80:                               ;   in Loop: Header=BB3_36 Depth=1
	s_wait_xcnt 0x0
	s_mov_b64 s[18:19], 0
	s_mov_b64 s[20:21], s[16:17]
.LBB3_81:                               ;   Parent Loop BB3_36 Depth=1
                                        ; =>  This Inner Loop Header: Depth=2
	global_load_u8 v1, v9, s[20:21]
	s_add_co_i32 s24, s24, -1
	s_wait_xcnt 0x0
	s_add_nc_u64 s[20:21], s[20:21], 1
	s_cmp_lg_u32 s24, 0
	s_wait_loadcnt 0x0
	v_and_b32_e32 v8, 0xffff, v1
	s_delay_alu instid0(VALU_DEP_1) | instskip(SKIP_1) | instid1(VALU_DEP_1)
	v_lshlrev_b64_e32 v[24:25], s18, v[8:9]
	s_add_nc_u64 s[18:19], s[18:19], 8
	v_or_b32_e32 v22, v24, v22
	s_delay_alu instid0(VALU_DEP_2)
	v_or_b32_e32 v23, v25, v23
	s_cbranch_scc1 .LBB3_81
.LBB3_82:                               ;   in Loop: Header=BB3_36 Depth=1
	s_cbranch_execz .LBB3_84
	s_branch .LBB3_85
.LBB3_83:                               ;   in Loop: Header=BB3_36 Depth=1
.LBB3_84:                               ;   in Loop: Header=BB3_36 Depth=1
	global_load_b64 v[22:23], v9, s[16:17]
.LBB3_85:                               ;   in Loop: Header=BB3_36 Depth=1
	v_readfirstlane_b32 s3, v29
	v_mov_b64_e32 v[32:33], 0
	s_delay_alu instid0(VALU_DEP_2)
	v_cmp_eq_u32_e64 s3, s3, v29
	s_wait_xcnt 0x0
	s_and_saveexec_b32 s16, s3
	s_cbranch_execz .LBB3_91
; %bb.86:                               ;   in Loop: Header=BB3_36 Depth=1
	global_load_b64 v[26:27], v9, s[8:9] offset:24 scope:SCOPE_SYS
	s_wait_loadcnt 0x0
	global_inv scope:SCOPE_SYS
	s_clause 0x1
	global_load_b64 v[24:25], v9, s[8:9] offset:40
	global_load_b64 v[32:33], v9, s[8:9]
	s_mov_b32 s17, exec_lo
	s_wait_loadcnt 0x1
	v_and_b32_e32 v24, v24, v26
	v_and_b32_e32 v25, v25, v27
	s_delay_alu instid0(VALU_DEP_1) | instskip(SKIP_1) | instid1(VALU_DEP_1)
	v_mul_u64_e32 v[24:25], 24, v[24:25]
	s_wait_loadcnt 0x0
	v_add_nc_u64_e32 v[24:25], v[32:33], v[24:25]
	global_load_b64 v[24:25], v[24:25], off scope:SCOPE_SYS
	s_wait_xcnt 0x0
	s_wait_loadcnt 0x0
	global_atomic_cmpswap_b64 v[32:33], v9, v[24:27], s[8:9] offset:24 th:TH_ATOMIC_RETURN scope:SCOPE_SYS
	s_wait_loadcnt 0x0
	global_inv scope:SCOPE_SYS
	s_wait_xcnt 0x0
	v_cmpx_ne_u64_e64 v[32:33], v[26:27]
	s_cbranch_execz .LBB3_90
; %bb.87:                               ;   in Loop: Header=BB3_36 Depth=1
	s_mov_b32 s18, 0
.LBB3_88:                               ;   Parent Loop BB3_36 Depth=1
                                        ; =>  This Inner Loop Header: Depth=2
	s_sleep 1
	s_clause 0x1
	global_load_b64 v[24:25], v9, s[8:9] offset:40
	global_load_b64 v[34:35], v9, s[8:9]
	v_mov_b64_e32 v[26:27], v[32:33]
	s_wait_loadcnt 0x1
	s_delay_alu instid0(VALU_DEP_1) | instskip(SKIP_1) | instid1(VALU_DEP_1)
	v_and_b32_e32 v1, v24, v26
	s_wait_loadcnt 0x0
	v_mad_nc_u64_u32 v[32:33], v1, 24, v[34:35]
	s_delay_alu instid0(VALU_DEP_3) | instskip(NEXT) | instid1(VALU_DEP_1)
	v_and_b32_e32 v1, v25, v27
	v_mad_u32 v33, v1, 24, v33
	global_load_b64 v[24:25], v[32:33], off scope:SCOPE_SYS
	s_wait_xcnt 0x0
	s_wait_loadcnt 0x0
	global_atomic_cmpswap_b64 v[32:33], v9, v[24:27], s[8:9] offset:24 th:TH_ATOMIC_RETURN scope:SCOPE_SYS
	s_wait_loadcnt 0x0
	global_inv scope:SCOPE_SYS
	v_cmp_eq_u64_e32 vcc_lo, v[32:33], v[26:27]
	s_or_b32 s18, vcc_lo, s18
	s_wait_xcnt 0x0
	s_and_not1_b32 exec_lo, exec_lo, s18
	s_cbranch_execnz .LBB3_88
; %bb.89:                               ;   in Loop: Header=BB3_36 Depth=1
	s_or_b32 exec_lo, exec_lo, s18
.LBB3_90:                               ;   in Loop: Header=BB3_36 Depth=1
	s_delay_alu instid0(SALU_CYCLE_1)
	s_or_b32 exec_lo, exec_lo, s17
.LBB3_91:                               ;   in Loop: Header=BB3_36 Depth=1
	s_delay_alu instid0(SALU_CYCLE_1)
	s_or_b32 exec_lo, exec_lo, s16
	s_clause 0x1
	global_load_b64 v[34:35], v9, s[8:9] offset:40
	global_load_b128 v[24:27], v9, s[8:9]
	v_readfirstlane_b32 s16, v32
	v_readfirstlane_b32 s17, v33
	s_mov_b32 s18, exec_lo
	s_wait_loadcnt 0x1
	v_and_b32_e32 v34, s16, v34
	v_and_b32_e32 v35, s17, v35
	s_delay_alu instid0(VALU_DEP_1) | instskip(SKIP_1) | instid1(VALU_DEP_1)
	v_mul_u64_e32 v[32:33], 24, v[34:35]
	s_wait_loadcnt 0x0
	v_add_nc_u64_e32 v[32:33], v[24:25], v[32:33]
	s_wait_xcnt 0x0
	s_and_saveexec_b32 s19, s3
	s_cbranch_execz .LBB3_93
; %bb.92:                               ;   in Loop: Header=BB3_36 Depth=1
	v_mov_b32_e32 v8, s18
	global_store_b128 v[32:33], v[8:11], off offset:8
.LBB3_93:                               ;   in Loop: Header=BB3_36 Depth=1
	s_wait_xcnt 0x0
	s_or_b32 exec_lo, exec_lo, s19
	v_cmp_lt_u64_e64 vcc_lo, s[12:13], 57
	v_lshlrev_b64_e32 v[34:35], 12, v[34:35]
	v_and_b32_e32 v4, 0xffffff1f, v4
	s_lshl_b32 s18, s14, 2
	s_delay_alu instid0(SALU_CYCLE_1) | instskip(SKIP_1) | instid1(VALU_DEP_3)
	s_add_co_i32 s18, s18, 28
	v_cndmask_b32_e32 v1, 0, v30, vcc_lo
	v_add_nc_u64_e32 v[26:27], v[26:27], v[34:35]
	s_delay_alu instid0(VALU_DEP_2) | instskip(NEXT) | instid1(VALU_DEP_2)
	v_or_b32_e32 v1, v4, v1
	v_readfirstlane_b32 s19, v27
	s_delay_alu instid0(VALU_DEP_2) | instskip(NEXT) | instid1(VALU_DEP_4)
	v_and_or_b32 v4, 0x1e0, s18, v1
	v_readfirstlane_b32 s18, v26
	s_clause 0x3
	global_store_b128 v0, v[4:7], s[18:19]
	global_store_b128 v0, v[12:15], s[18:19] offset:16
	global_store_b128 v0, v[16:19], s[18:19] offset:32
	;; [unrolled: 1-line block ×3, first 2 shown]
	s_wait_xcnt 0x0
	s_and_saveexec_b32 s18, s3
	s_cbranch_execz .LBB3_101
; %bb.94:                               ;   in Loop: Header=BB3_36 Depth=1
	s_clause 0x1
	global_load_b64 v[16:17], v9, s[8:9] offset:32 scope:SCOPE_SYS
	global_load_b64 v[4:5], v9, s[8:9] offset:40
	s_mov_b32 s19, exec_lo
	v_dual_mov_b32 v14, s16 :: v_dual_mov_b32 v15, s17
	s_wait_loadcnt 0x0
	v_and_b32_e32 v5, s17, v5
	v_and_b32_e32 v4, s16, v4
	s_delay_alu instid0(VALU_DEP_1) | instskip(NEXT) | instid1(VALU_DEP_1)
	v_mul_u64_e32 v[4:5], 24, v[4:5]
	v_add_nc_u64_e32 v[12:13], v[24:25], v[4:5]
	global_store_b64 v[12:13], v[16:17], off
	global_wb scope:SCOPE_SYS
	s_wait_storecnt 0x0
	s_wait_xcnt 0x0
	global_atomic_cmpswap_b64 v[6:7], v9, v[14:17], s[8:9] offset:32 th:TH_ATOMIC_RETURN scope:SCOPE_SYS
	s_wait_loadcnt 0x0
	v_cmpx_ne_u64_e64 v[6:7], v[16:17]
	s_cbranch_execz .LBB3_97
; %bb.95:                               ;   in Loop: Header=BB3_36 Depth=1
	s_mov_b32 s20, 0
.LBB3_96:                               ;   Parent Loop BB3_36 Depth=1
                                        ; =>  This Inner Loop Header: Depth=2
	v_dual_mov_b32 v4, s16 :: v_dual_mov_b32 v5, s17
	s_sleep 1
	global_store_b64 v[12:13], v[6:7], off
	global_wb scope:SCOPE_SYS
	s_wait_storecnt 0x0
	s_wait_xcnt 0x0
	global_atomic_cmpswap_b64 v[4:5], v9, v[4:7], s[8:9] offset:32 th:TH_ATOMIC_RETURN scope:SCOPE_SYS
	s_wait_loadcnt 0x0
	v_cmp_eq_u64_e32 vcc_lo, v[4:5], v[6:7]
	v_mov_b64_e32 v[6:7], v[4:5]
	s_or_b32 s20, vcc_lo, s20
	s_delay_alu instid0(SALU_CYCLE_1)
	s_and_not1_b32 exec_lo, exec_lo, s20
	s_cbranch_execnz .LBB3_96
.LBB3_97:                               ;   in Loop: Header=BB3_36 Depth=1
	s_or_b32 exec_lo, exec_lo, s19
	global_load_b64 v[4:5], v9, s[8:9] offset:16
	s_mov_b32 s20, exec_lo
	s_mov_b32 s19, exec_lo
	v_mbcnt_lo_u32_b32 v1, s20, 0
	s_wait_xcnt 0x0
	s_delay_alu instid0(VALU_DEP_1)
	v_cmpx_eq_u32_e32 0, v1
	s_cbranch_execz .LBB3_99
; %bb.98:                               ;   in Loop: Header=BB3_36 Depth=1
	s_bcnt1_i32_b32 s20, s20
	s_delay_alu instid0(SALU_CYCLE_1)
	v_mov_b32_e32 v8, s20
	global_wb scope:SCOPE_SYS
	s_wait_loadcnt 0x0
	s_wait_storecnt 0x0
	global_atomic_add_u64 v[4:5], v[8:9], off offset:8 scope:SCOPE_SYS
.LBB3_99:                               ;   in Loop: Header=BB3_36 Depth=1
	s_wait_xcnt 0x0
	s_or_b32 exec_lo, exec_lo, s19
	s_wait_loadcnt 0x0
	global_load_b64 v[6:7], v[4:5], off offset:16
	s_wait_loadcnt 0x0
	v_cmp_eq_u64_e32 vcc_lo, 0, v[6:7]
	s_cbranch_vccnz .LBB3_101
; %bb.100:                              ;   in Loop: Header=BB3_36 Depth=1
	global_load_b32 v8, v[4:5], off offset:24
	s_wait_loadcnt 0x0
	v_readfirstlane_b32 s19, v8
	global_wb scope:SCOPE_SYS
	s_wait_storecnt 0x0
	s_wait_xcnt 0x0
	global_store_b64 v[6:7], v[8:9], off scope:SCOPE_SYS
	s_and_b32 m0, s19, 0xffffff
	s_sendmsg sendmsg(MSG_INTERRUPT)
.LBB3_101:                              ;   in Loop: Header=BB3_36 Depth=1
	s_wait_xcnt 0x0
	s_or_b32 exec_lo, exec_lo, s18
	v_mov_b32_e32 v1, v9
	s_delay_alu instid0(VALU_DEP_1)
	v_add_nc_u64_e32 v[4:5], v[26:27], v[0:1]
	s_branch .LBB3_105
.LBB3_102:                              ;   in Loop: Header=BB3_105 Depth=2
	s_wait_xcnt 0x0
	s_or_b32 exec_lo, exec_lo, s18
	s_delay_alu instid0(VALU_DEP_1)
	v_readfirstlane_b32 s18, v1
	s_cmp_eq_u32 s18, 0
	s_cbranch_scc1 .LBB3_104
; %bb.103:                              ;   in Loop: Header=BB3_105 Depth=2
	s_sleep 1
	s_cbranch_execnz .LBB3_105
	s_branch .LBB3_107
.LBB3_104:                              ;   in Loop: Header=BB3_36 Depth=1
	s_branch .LBB3_107
.LBB3_105:                              ;   Parent Loop BB3_36 Depth=1
                                        ; =>  This Inner Loop Header: Depth=2
	v_mov_b32_e32 v1, 1
	s_and_saveexec_b32 s18, s3
	s_cbranch_execz .LBB3_102
; %bb.106:                              ;   in Loop: Header=BB3_105 Depth=2
	global_load_b32 v1, v[32:33], off offset:20 scope:SCOPE_SYS
	s_wait_loadcnt 0x0
	global_inv scope:SCOPE_SYS
	v_and_b32_e32 v1, 1, v1
	s_branch .LBB3_102
.LBB3_107:                              ;   in Loop: Header=BB3_36 Depth=1
	global_load_b64 v[4:5], v[4:5], off
	s_wait_xcnt 0x0
	s_and_saveexec_b32 s18, s3
	s_cbranch_execz .LBB3_35
; %bb.108:                              ;   in Loop: Header=BB3_36 Depth=1
	s_clause 0x2
	global_load_b64 v[6:7], v9, s[8:9] offset:40
	global_load_b64 v[16:17], v9, s[8:9] offset:24 scope:SCOPE_SYS
	global_load_b64 v[12:13], v9, s[8:9]
	s_wait_loadcnt 0x2
	v_readfirstlane_b32 s20, v6
	v_readfirstlane_b32 s21, v7
	s_add_nc_u64 s[24:25], s[20:21], 1
	s_delay_alu instid0(SALU_CYCLE_1) | instskip(NEXT) | instid1(SALU_CYCLE_1)
	s_add_nc_u64 s[16:17], s[24:25], s[16:17]
	s_cmp_eq_u64 s[16:17], 0
	s_cselect_b32 s17, s25, s17
	s_cselect_b32 s16, s24, s16
	s_delay_alu instid0(SALU_CYCLE_1) | instskip(SKIP_1) | instid1(SALU_CYCLE_1)
	v_dual_mov_b32 v15, s17 :: v_dual_mov_b32 v14, s16
	s_and_b64 s[20:21], s[16:17], s[20:21]
	s_mul_u64 s[20:21], s[20:21], 24
	s_wait_loadcnt 0x0
	v_add_nc_u64_e32 v[6:7], s[20:21], v[12:13]
	global_store_b64 v[6:7], v[16:17], off
	global_wb scope:SCOPE_SYS
	s_wait_storecnt 0x0
	s_wait_xcnt 0x0
	global_atomic_cmpswap_b64 v[14:15], v9, v[14:17], s[8:9] offset:24 th:TH_ATOMIC_RETURN scope:SCOPE_SYS
	s_wait_loadcnt 0x0
	v_cmp_ne_u64_e32 vcc_lo, v[14:15], v[16:17]
	s_and_b32 exec_lo, exec_lo, vcc_lo
	s_cbranch_execz .LBB3_35
; %bb.109:                              ;   in Loop: Header=BB3_36 Depth=1
	s_mov_b32 s3, 0
.LBB3_110:                              ;   Parent Loop BB3_36 Depth=1
                                        ; =>  This Inner Loop Header: Depth=2
	v_dual_mov_b32 v12, s16 :: v_dual_mov_b32 v13, s17
	s_sleep 1
	global_store_b64 v[6:7], v[14:15], off
	global_wb scope:SCOPE_SYS
	s_wait_storecnt 0x0
	s_wait_xcnt 0x0
	global_atomic_cmpswap_b64 v[12:13], v9, v[12:15], s[8:9] offset:24 th:TH_ATOMIC_RETURN scope:SCOPE_SYS
	s_wait_loadcnt 0x0
	v_cmp_eq_u64_e32 vcc_lo, v[12:13], v[14:15]
	v_mov_b64_e32 v[14:15], v[12:13]
	s_or_b32 s3, vcc_lo, s3
	s_delay_alu instid0(SALU_CYCLE_1)
	s_and_not1_b32 exec_lo, exec_lo, s3
	s_cbranch_execnz .LBB3_110
	s_branch .LBB3_35
.LBB3_111:
	s_branch .LBB3_140
.LBB3_112:
                                        ; implicit-def: $vgpr4_vgpr5
	s_cbranch_execz .LBB3_140
; %bb.113:
	v_readfirstlane_b32 s3, v29
	s_wait_loadcnt 0x0
	v_mov_b64_e32 v[4:5], 0
	s_delay_alu instid0(VALU_DEP_2)
	v_cmp_eq_u32_e64 s3, s3, v29
	s_and_saveexec_b32 s10, s3
	s_cbranch_execz .LBB3_119
; %bb.114:
	v_mov_b32_e32 v1, 0
	s_mov_b32 s11, exec_lo
	global_load_b64 v[6:7], v1, s[8:9] offset:24 scope:SCOPE_SYS
	s_wait_loadcnt 0x0
	global_inv scope:SCOPE_SYS
	s_clause 0x1
	global_load_b64 v[4:5], v1, s[8:9] offset:40
	global_load_b64 v[8:9], v1, s[8:9]
	s_wait_loadcnt 0x1
	v_and_b32_e32 v4, v4, v6
	v_and_b32_e32 v5, v5, v7
	s_delay_alu instid0(VALU_DEP_1) | instskip(SKIP_1) | instid1(VALU_DEP_1)
	v_mul_u64_e32 v[4:5], 24, v[4:5]
	s_wait_loadcnt 0x0
	v_add_nc_u64_e32 v[4:5], v[8:9], v[4:5]
	global_load_b64 v[4:5], v[4:5], off scope:SCOPE_SYS
	s_wait_xcnt 0x0
	s_wait_loadcnt 0x0
	global_atomic_cmpswap_b64 v[4:5], v1, v[4:7], s[8:9] offset:24 th:TH_ATOMIC_RETURN scope:SCOPE_SYS
	s_wait_loadcnt 0x0
	global_inv scope:SCOPE_SYS
	s_wait_xcnt 0x0
	v_cmpx_ne_u64_e64 v[4:5], v[6:7]
	s_cbranch_execz .LBB3_118
; %bb.115:
	s_mov_b32 s12, 0
.LBB3_116:                              ; =>This Inner Loop Header: Depth=1
	s_sleep 1
	s_clause 0x1
	global_load_b64 v[8:9], v1, s[8:9] offset:40
	global_load_b64 v[10:11], v1, s[8:9]
	v_mov_b64_e32 v[6:7], v[4:5]
	s_wait_loadcnt 0x1
	s_delay_alu instid0(VALU_DEP_1) | instskip(NEXT) | instid1(VALU_DEP_2)
	v_and_b32_e32 v4, v8, v6
	v_and_b32_e32 v8, v9, v7
	s_wait_loadcnt 0x0
	s_delay_alu instid0(VALU_DEP_2) | instskip(NEXT) | instid1(VALU_DEP_1)
	v_mad_nc_u64_u32 v[4:5], v4, 24, v[10:11]
	v_mad_u32 v5, v8, 24, v5
	global_load_b64 v[4:5], v[4:5], off scope:SCOPE_SYS
	s_wait_xcnt 0x0
	s_wait_loadcnt 0x0
	global_atomic_cmpswap_b64 v[4:5], v1, v[4:7], s[8:9] offset:24 th:TH_ATOMIC_RETURN scope:SCOPE_SYS
	s_wait_loadcnt 0x0
	global_inv scope:SCOPE_SYS
	v_cmp_eq_u64_e32 vcc_lo, v[4:5], v[6:7]
	s_or_b32 s12, vcc_lo, s12
	s_wait_xcnt 0x0
	s_and_not1_b32 exec_lo, exec_lo, s12
	s_cbranch_execnz .LBB3_116
; %bb.117:
	s_or_b32 exec_lo, exec_lo, s12
.LBB3_118:
	s_delay_alu instid0(SALU_CYCLE_1)
	s_or_b32 exec_lo, exec_lo, s11
.LBB3_119:
	s_delay_alu instid0(SALU_CYCLE_1)
	s_or_b32 exec_lo, exec_lo, s10
	v_readfirstlane_b32 s10, v4
	v_mov_b32_e32 v1, 0
	v_readfirstlane_b32 s11, v5
	s_mov_b32 s12, exec_lo
	s_clause 0x1
	global_load_b64 v[10:11], v1, s[8:9] offset:40
	global_load_b128 v[6:9], v1, s[8:9]
	s_wait_loadcnt 0x1
	v_and_b32_e32 v4, s10, v10
	v_and_b32_e32 v5, s11, v11
	s_delay_alu instid0(VALU_DEP_1) | instskip(SKIP_1) | instid1(VALU_DEP_1)
	v_mul_u64_e32 v[10:11], 24, v[4:5]
	s_wait_loadcnt 0x0
	v_add_nc_u64_e32 v[10:11], v[6:7], v[10:11]
	s_wait_xcnt 0x0
	s_and_saveexec_b32 s13, s3
	s_cbranch_execz .LBB3_121
; %bb.120:
	v_mov_b64_e32 v[14:15], 0x100000002
	v_dual_mov_b32 v12, s12 :: v_dual_mov_b32 v13, v1
	global_store_b128 v[10:11], v[12:15], off offset:8
.LBB3_121:
	s_wait_xcnt 0x0
	s_or_b32 exec_lo, exec_lo, s13
	v_lshlrev_b64_e32 v[4:5], 12, v[4:5]
	s_mov_b32 s12, 0
	v_and_or_b32 v2, 0xffffff1f, v2, 32
	s_mov_b32 s13, s12
	s_mov_b32 s14, s12
	s_mov_b32 s15, s12
	v_mov_b64_e32 v[12:13], s[12:13]
	v_add_nc_u64_e32 v[8:9], v[8:9], v[4:5]
	v_mov_b64_e32 v[14:15], s[14:15]
	v_dual_mov_b32 v4, v1 :: v_dual_mov_b32 v5, v1
	s_delay_alu instid0(VALU_DEP_3) | instskip(NEXT) | instid1(VALU_DEP_4)
	v_readfirstlane_b32 s16, v8
	v_readfirstlane_b32 s17, v9
	s_clause 0x3
	global_store_b128 v0, v[2:5], s[16:17]
	global_store_b128 v0, v[12:15], s[16:17] offset:16
	global_store_b128 v0, v[12:15], s[16:17] offset:32
	;; [unrolled: 1-line block ×3, first 2 shown]
	s_wait_xcnt 0x0
	s_and_saveexec_b32 s12, s3
	s_cbranch_execz .LBB3_129
; %bb.122:
	v_dual_mov_b32 v12, 0 :: v_dual_mov_b32 v15, s11
	s_mov_b32 s13, exec_lo
	s_clause 0x1
	global_load_b64 v[16:17], v12, s[8:9] offset:32 scope:SCOPE_SYS
	global_load_b64 v[2:3], v12, s[8:9] offset:40
	s_wait_loadcnt 0x0
	v_dual_mov_b32 v14, s10 :: v_dual_bitop2_b32 v3, s11, v3 bitop3:0x40
	v_and_b32_e32 v2, s10, v2
	s_delay_alu instid0(VALU_DEP_1) | instskip(NEXT) | instid1(VALU_DEP_1)
	v_mul_u64_e32 v[2:3], 24, v[2:3]
	v_add_nc_u64_e32 v[6:7], v[6:7], v[2:3]
	global_store_b64 v[6:7], v[16:17], off
	global_wb scope:SCOPE_SYS
	s_wait_storecnt 0x0
	s_wait_xcnt 0x0
	global_atomic_cmpswap_b64 v[4:5], v12, v[14:17], s[8:9] offset:32 th:TH_ATOMIC_RETURN scope:SCOPE_SYS
	s_wait_loadcnt 0x0
	v_cmpx_ne_u64_e64 v[4:5], v[16:17]
	s_cbranch_execz .LBB3_125
; %bb.123:
	s_mov_b32 s14, 0
.LBB3_124:                              ; =>This Inner Loop Header: Depth=1
	v_dual_mov_b32 v2, s10 :: v_dual_mov_b32 v3, s11
	s_sleep 1
	global_store_b64 v[6:7], v[4:5], off
	global_wb scope:SCOPE_SYS
	s_wait_storecnt 0x0
	s_wait_xcnt 0x0
	global_atomic_cmpswap_b64 v[2:3], v12, v[2:5], s[8:9] offset:32 th:TH_ATOMIC_RETURN scope:SCOPE_SYS
	s_wait_loadcnt 0x0
	v_cmp_eq_u64_e32 vcc_lo, v[2:3], v[4:5]
	v_mov_b64_e32 v[4:5], v[2:3]
	s_or_b32 s14, vcc_lo, s14
	s_delay_alu instid0(SALU_CYCLE_1)
	s_and_not1_b32 exec_lo, exec_lo, s14
	s_cbranch_execnz .LBB3_124
.LBB3_125:
	s_or_b32 exec_lo, exec_lo, s13
	v_mov_b32_e32 v5, 0
	s_mov_b32 s14, exec_lo
	s_mov_b32 s13, exec_lo
	v_mbcnt_lo_u32_b32 v4, s14, 0
	global_load_b64 v[2:3], v5, s[8:9] offset:16
	s_wait_xcnt 0x0
	v_cmpx_eq_u32_e32 0, v4
	s_cbranch_execz .LBB3_127
; %bb.126:
	s_bcnt1_i32_b32 s14, s14
	s_delay_alu instid0(SALU_CYCLE_1)
	v_mov_b32_e32 v4, s14
	global_wb scope:SCOPE_SYS
	s_wait_loadcnt 0x0
	s_wait_storecnt 0x0
	global_atomic_add_u64 v[2:3], v[4:5], off offset:8 scope:SCOPE_SYS
.LBB3_127:
	s_wait_xcnt 0x0
	s_or_b32 exec_lo, exec_lo, s13
	s_wait_loadcnt 0x0
	global_load_b64 v[4:5], v[2:3], off offset:16
	s_wait_loadcnt 0x0
	v_cmp_eq_u64_e32 vcc_lo, 0, v[4:5]
	s_cbranch_vccnz .LBB3_129
; %bb.128:
	global_load_b32 v2, v[2:3], off offset:24
	s_wait_xcnt 0x0
	v_mov_b32_e32 v3, 0
	s_wait_loadcnt 0x0
	v_readfirstlane_b32 s13, v2
	global_wb scope:SCOPE_SYS
	s_wait_storecnt 0x0
	global_store_b64 v[4:5], v[2:3], off scope:SCOPE_SYS
	s_and_b32 m0, s13, 0xffffff
	s_sendmsg sendmsg(MSG_INTERRUPT)
.LBB3_129:
	s_wait_xcnt 0x0
	s_or_b32 exec_lo, exec_lo, s12
	v_add_nc_u64_e32 v[2:3], v[8:9], v[0:1]
	s_branch .LBB3_133
.LBB3_130:                              ;   in Loop: Header=BB3_133 Depth=1
	s_wait_xcnt 0x0
	s_or_b32 exec_lo, exec_lo, s12
	s_delay_alu instid0(VALU_DEP_1)
	v_readfirstlane_b32 s12, v1
	s_cmp_eq_u32 s12, 0
	s_cbranch_scc1 .LBB3_132
; %bb.131:                              ;   in Loop: Header=BB3_133 Depth=1
	s_sleep 1
	s_cbranch_execnz .LBB3_133
	s_branch .LBB3_135
.LBB3_132:
	s_branch .LBB3_135
.LBB3_133:                              ; =>This Inner Loop Header: Depth=1
	v_mov_b32_e32 v1, 1
	s_and_saveexec_b32 s12, s3
	s_cbranch_execz .LBB3_130
; %bb.134:                              ;   in Loop: Header=BB3_133 Depth=1
	global_load_b32 v1, v[10:11], off offset:20 scope:SCOPE_SYS
	s_wait_loadcnt 0x0
	global_inv scope:SCOPE_SYS
	v_and_b32_e32 v1, 1, v1
	s_branch .LBB3_130
.LBB3_135:
	global_load_b64 v[4:5], v[2:3], off
	s_wait_xcnt 0x0
	s_and_saveexec_b32 s12, s3
	s_cbranch_execz .LBB3_139
; %bb.136:
	v_mov_b32_e32 v1, 0
	s_clause 0x2
	global_load_b64 v[2:3], v1, s[8:9] offset:40
	global_load_b64 v[10:11], v1, s[8:9] offset:24 scope:SCOPE_SYS
	global_load_b64 v[6:7], v1, s[8:9]
	s_wait_loadcnt 0x2
	v_readfirstlane_b32 s14, v2
	v_readfirstlane_b32 s15, v3
	s_add_nc_u64 s[16:17], s[14:15], 1
	s_delay_alu instid0(SALU_CYCLE_1) | instskip(NEXT) | instid1(SALU_CYCLE_1)
	s_add_nc_u64 s[10:11], s[16:17], s[10:11]
	s_cmp_eq_u64 s[10:11], 0
	s_cselect_b32 s11, s17, s11
	s_cselect_b32 s10, s16, s10
	v_mov_b32_e32 v9, s11
	s_and_b64 s[14:15], s[10:11], s[14:15]
	v_mov_b32_e32 v8, s10
	s_mul_u64 s[14:15], s[14:15], 24
	s_wait_loadcnt 0x0
	v_add_nc_u64_e32 v[2:3], s[14:15], v[6:7]
	global_store_b64 v[2:3], v[10:11], off
	global_wb scope:SCOPE_SYS
	s_wait_storecnt 0x0
	s_wait_xcnt 0x0
	global_atomic_cmpswap_b64 v[8:9], v1, v[8:11], s[8:9] offset:24 th:TH_ATOMIC_RETURN scope:SCOPE_SYS
	s_wait_loadcnt 0x0
	v_cmp_ne_u64_e32 vcc_lo, v[8:9], v[10:11]
	s_and_b32 exec_lo, exec_lo, vcc_lo
	s_cbranch_execz .LBB3_139
; %bb.137:
	s_mov_b32 s3, 0
.LBB3_138:                              ; =>This Inner Loop Header: Depth=1
	v_dual_mov_b32 v6, s10 :: v_dual_mov_b32 v7, s11
	s_sleep 1
	global_store_b64 v[2:3], v[8:9], off
	global_wb scope:SCOPE_SYS
	s_wait_storecnt 0x0
	s_wait_xcnt 0x0
	global_atomic_cmpswap_b64 v[6:7], v1, v[6:9], s[8:9] offset:24 th:TH_ATOMIC_RETURN scope:SCOPE_SYS
	s_wait_loadcnt 0x0
	v_cmp_eq_u64_e32 vcc_lo, v[6:7], v[8:9]
	v_mov_b64_e32 v[8:9], v[6:7]
	s_or_b32 s3, vcc_lo, s3
	s_delay_alu instid0(SALU_CYCLE_1)
	s_and_not1_b32 exec_lo, exec_lo, s3
	s_cbranch_execnz .LBB3_138
.LBB3_139:
	s_or_b32 exec_lo, exec_lo, s12
.LBB3_140:
	v_readfirstlane_b32 s3, v29
	s_wait_loadcnt 0x0
	v_mov_b64_e32 v[2:3], 0
	s_delay_alu instid0(VALU_DEP_2)
	v_cmp_eq_u32_e64 s3, s3, v29
	s_and_saveexec_b32 s10, s3
	s_cbranch_execz .LBB3_146
; %bb.141:
	v_mov_b32_e32 v1, 0
	s_mov_b32 s11, exec_lo
	global_load_b64 v[8:9], v1, s[8:9] offset:24 scope:SCOPE_SYS
	s_wait_loadcnt 0x0
	global_inv scope:SCOPE_SYS
	s_clause 0x1
	global_load_b64 v[2:3], v1, s[8:9] offset:40
	global_load_b64 v[6:7], v1, s[8:9]
	s_wait_loadcnt 0x1
	v_and_b32_e32 v2, v2, v8
	v_and_b32_e32 v3, v3, v9
	s_delay_alu instid0(VALU_DEP_1) | instskip(SKIP_1) | instid1(VALU_DEP_1)
	v_mul_u64_e32 v[2:3], 24, v[2:3]
	s_wait_loadcnt 0x0
	v_add_nc_u64_e32 v[2:3], v[6:7], v[2:3]
	global_load_b64 v[6:7], v[2:3], off scope:SCOPE_SYS
	s_wait_xcnt 0x0
	s_wait_loadcnt 0x0
	global_atomic_cmpswap_b64 v[2:3], v1, v[6:9], s[8:9] offset:24 th:TH_ATOMIC_RETURN scope:SCOPE_SYS
	s_wait_loadcnt 0x0
	global_inv scope:SCOPE_SYS
	s_wait_xcnt 0x0
	v_cmpx_ne_u64_e64 v[2:3], v[8:9]
	s_cbranch_execz .LBB3_145
; %bb.142:
	s_mov_b32 s12, 0
.LBB3_143:                              ; =>This Inner Loop Header: Depth=1
	s_sleep 1
	s_clause 0x1
	global_load_b64 v[6:7], v1, s[8:9] offset:40
	global_load_b64 v[10:11], v1, s[8:9]
	v_mov_b64_e32 v[8:9], v[2:3]
	s_wait_loadcnt 0x1
	s_delay_alu instid0(VALU_DEP_1) | instskip(NEXT) | instid1(VALU_DEP_2)
	v_and_b32_e32 v2, v6, v8
	v_and_b32_e32 v6, v7, v9
	s_wait_loadcnt 0x0
	s_delay_alu instid0(VALU_DEP_2) | instskip(NEXT) | instid1(VALU_DEP_1)
	v_mad_nc_u64_u32 v[2:3], v2, 24, v[10:11]
	v_mad_u32 v3, v6, 24, v3
	global_load_b64 v[6:7], v[2:3], off scope:SCOPE_SYS
	s_wait_xcnt 0x0
	s_wait_loadcnt 0x0
	global_atomic_cmpswap_b64 v[2:3], v1, v[6:9], s[8:9] offset:24 th:TH_ATOMIC_RETURN scope:SCOPE_SYS
	s_wait_loadcnt 0x0
	global_inv scope:SCOPE_SYS
	v_cmp_eq_u64_e32 vcc_lo, v[2:3], v[8:9]
	s_or_b32 s12, vcc_lo, s12
	s_wait_xcnt 0x0
	s_and_not1_b32 exec_lo, exec_lo, s12
	s_cbranch_execnz .LBB3_143
; %bb.144:
	s_or_b32 exec_lo, exec_lo, s12
.LBB3_145:
	s_delay_alu instid0(SALU_CYCLE_1)
	s_or_b32 exec_lo, exec_lo, s11
.LBB3_146:
	s_delay_alu instid0(SALU_CYCLE_1)
	s_or_b32 exec_lo, exec_lo, s10
	v_readfirstlane_b32 s10, v2
	v_mov_b32_e32 v1, 0
	v_readfirstlane_b32 s11, v3
	s_mov_b32 s12, exec_lo
	s_clause 0x1
	global_load_b64 v[6:7], v1, s[8:9] offset:40
	global_load_b128 v[8:11], v1, s[8:9]
	s_wait_loadcnt 0x1
	v_and_b32_e32 v2, s10, v6
	v_and_b32_e32 v3, s11, v7
	s_delay_alu instid0(VALU_DEP_1) | instskip(SKIP_1) | instid1(VALU_DEP_1)
	v_mul_u64_e32 v[6:7], 24, v[2:3]
	s_wait_loadcnt 0x0
	v_add_nc_u64_e32 v[12:13], v[8:9], v[6:7]
	s_wait_xcnt 0x0
	s_and_saveexec_b32 s13, s3
	s_cbranch_execz .LBB3_148
; %bb.147:
	v_mov_b64_e32 v[16:17], 0x100000002
	v_dual_mov_b32 v14, s12 :: v_dual_mov_b32 v15, v1
	global_store_b128 v[12:13], v[14:17], off offset:8
.LBB3_148:
	s_wait_xcnt 0x0
	s_or_b32 exec_lo, exec_lo, s13
	v_lshlrev_b64_e32 v[2:3], 12, v[2:3]
	s_mov_b32 s16, 0
	s_add_co_i32 s12, s22, -1
	s_mov_b32 s17, s16
	s_mov_b32 s18, s16
	;; [unrolled: 1-line block ×3, first 2 shown]
	v_mov_b64_e32 v[14:15], s[16:17]
	v_add_nc_u64_e32 v[10:11], v[10:11], v[2:3]
	v_mov_b64_e32 v[16:17], s[18:19]
	v_and_or_b32 v4, 0xffffff1f, v4, 32
	v_dual_mov_b32 v7, v1 :: v_dual_mov_b32 v6, s12
	s_delay_alu instid0(VALU_DEP_4)
	v_readfirstlane_b32 s14, v10
	v_readfirstlane_b32 s15, v11
	s_clause 0x3
	global_store_b128 v0, v[4:7], s[14:15]
	global_store_b128 v0, v[14:17], s[14:15] offset:16
	global_store_b128 v0, v[14:17], s[14:15] offset:32
	;; [unrolled: 1-line block ×3, first 2 shown]
	s_wait_xcnt 0x0
	s_and_saveexec_b32 s13, s3
	s_cbranch_execz .LBB3_156
; %bb.149:
	v_dual_mov_b32 v14, 0 :: v_dual_mov_b32 v17, s11
	s_mov_b32 s14, exec_lo
	s_clause 0x1
	global_load_b64 v[18:19], v14, s[8:9] offset:32 scope:SCOPE_SYS
	global_load_b64 v[2:3], v14, s[8:9] offset:40
	s_wait_loadcnt 0x0
	v_dual_mov_b32 v16, s10 :: v_dual_bitop2_b32 v3, s11, v3 bitop3:0x40
	v_and_b32_e32 v2, s10, v2
	s_delay_alu instid0(VALU_DEP_1) | instskip(NEXT) | instid1(VALU_DEP_1)
	v_mul_u64_e32 v[2:3], 24, v[2:3]
	v_add_nc_u64_e32 v[6:7], v[8:9], v[2:3]
	global_store_b64 v[6:7], v[18:19], off
	global_wb scope:SCOPE_SYS
	s_wait_storecnt 0x0
	s_wait_xcnt 0x0
	global_atomic_cmpswap_b64 v[4:5], v14, v[16:19], s[8:9] offset:32 th:TH_ATOMIC_RETURN scope:SCOPE_SYS
	s_wait_loadcnt 0x0
	v_cmpx_ne_u64_e64 v[4:5], v[18:19]
	s_cbranch_execz .LBB3_152
; %bb.150:
	s_mov_b32 s15, 0
.LBB3_151:                              ; =>This Inner Loop Header: Depth=1
	v_dual_mov_b32 v2, s10 :: v_dual_mov_b32 v3, s11
	s_sleep 1
	global_store_b64 v[6:7], v[4:5], off
	global_wb scope:SCOPE_SYS
	s_wait_storecnt 0x0
	s_wait_xcnt 0x0
	global_atomic_cmpswap_b64 v[2:3], v14, v[2:5], s[8:9] offset:32 th:TH_ATOMIC_RETURN scope:SCOPE_SYS
	s_wait_loadcnt 0x0
	v_cmp_eq_u64_e32 vcc_lo, v[2:3], v[4:5]
	v_mov_b64_e32 v[4:5], v[2:3]
	s_or_b32 s15, vcc_lo, s15
	s_delay_alu instid0(SALU_CYCLE_1)
	s_and_not1_b32 exec_lo, exec_lo, s15
	s_cbranch_execnz .LBB3_151
.LBB3_152:
	s_or_b32 exec_lo, exec_lo, s14
	v_mov_b32_e32 v5, 0
	s_mov_b32 s15, exec_lo
	s_mov_b32 s14, exec_lo
	v_mbcnt_lo_u32_b32 v4, s15, 0
	global_load_b64 v[2:3], v5, s[8:9] offset:16
	s_wait_xcnt 0x0
	v_cmpx_eq_u32_e32 0, v4
	s_cbranch_execz .LBB3_154
; %bb.153:
	s_bcnt1_i32_b32 s15, s15
	s_delay_alu instid0(SALU_CYCLE_1)
	v_mov_b32_e32 v4, s15
	global_wb scope:SCOPE_SYS
	s_wait_loadcnt 0x0
	s_wait_storecnt 0x0
	global_atomic_add_u64 v[2:3], v[4:5], off offset:8 scope:SCOPE_SYS
.LBB3_154:
	s_wait_xcnt 0x0
	s_or_b32 exec_lo, exec_lo, s14
	s_wait_loadcnt 0x0
	global_load_b64 v[4:5], v[2:3], off offset:16
	s_wait_loadcnt 0x0
	v_cmp_eq_u64_e32 vcc_lo, 0, v[4:5]
	s_cbranch_vccnz .LBB3_156
; %bb.155:
	global_load_b32 v2, v[2:3], off offset:24
	s_wait_xcnt 0x0
	v_mov_b32_e32 v3, 0
	s_wait_loadcnt 0x0
	v_readfirstlane_b32 s14, v2
	global_wb scope:SCOPE_SYS
	s_wait_storecnt 0x0
	global_store_b64 v[4:5], v[2:3], off scope:SCOPE_SYS
	s_and_b32 m0, s14, 0xffffff
	s_sendmsg sendmsg(MSG_INTERRUPT)
.LBB3_156:
	s_wait_xcnt 0x0
	s_or_b32 exec_lo, exec_lo, s13
	v_add_nc_u64_e32 v[2:3], v[10:11], v[0:1]
	s_branch .LBB3_160
.LBB3_157:                              ;   in Loop: Header=BB3_160 Depth=1
	s_wait_xcnt 0x0
	s_or_b32 exec_lo, exec_lo, s13
	s_delay_alu instid0(VALU_DEP_1)
	v_readfirstlane_b32 s13, v1
	s_cmp_eq_u32 s13, 0
	s_cbranch_scc1 .LBB3_159
; %bb.158:                              ;   in Loop: Header=BB3_160 Depth=1
	s_sleep 1
	s_cbranch_execnz .LBB3_160
	s_branch .LBB3_162
.LBB3_159:
	s_branch .LBB3_162
.LBB3_160:                              ; =>This Inner Loop Header: Depth=1
	v_mov_b32_e32 v1, 1
	s_and_saveexec_b32 s13, s3
	s_cbranch_execz .LBB3_157
; %bb.161:                              ;   in Loop: Header=BB3_160 Depth=1
	global_load_b32 v1, v[12:13], off offset:20 scope:SCOPE_SYS
	s_wait_loadcnt 0x0
	global_inv scope:SCOPE_SYS
	v_and_b32_e32 v1, 1, v1
	s_branch .LBB3_157
.LBB3_162:
	global_load_b64 v[2:3], v[2:3], off
	s_wait_xcnt 0x0
	s_and_saveexec_b32 s13, s3
	s_cbranch_execz .LBB3_166
; %bb.163:
	v_mov_b32_e32 v1, 0
	s_clause 0x2
	global_load_b64 v[4:5], v1, s[8:9] offset:40
	global_load_b64 v[12:13], v1, s[8:9] offset:24 scope:SCOPE_SYS
	global_load_b64 v[6:7], v1, s[8:9]
	s_wait_loadcnt 0x2
	v_readfirstlane_b32 s14, v4
	v_readfirstlane_b32 s15, v5
	s_add_nc_u64 s[16:17], s[14:15], 1
	s_delay_alu instid0(SALU_CYCLE_1) | instskip(NEXT) | instid1(SALU_CYCLE_1)
	s_add_nc_u64 s[10:11], s[16:17], s[10:11]
	s_cmp_eq_u64 s[10:11], 0
	s_cselect_b32 s11, s17, s11
	s_cselect_b32 s10, s16, s10
	v_mov_b32_e32 v11, s11
	s_and_b64 s[14:15], s[10:11], s[14:15]
	v_mov_b32_e32 v10, s10
	s_mul_u64 s[14:15], s[14:15], 24
	s_wait_loadcnt 0x0
	v_add_nc_u64_e32 v[8:9], s[14:15], v[6:7]
	global_store_b64 v[8:9], v[12:13], off
	global_wb scope:SCOPE_SYS
	s_wait_storecnt 0x0
	s_wait_xcnt 0x0
	global_atomic_cmpswap_b64 v[6:7], v1, v[10:13], s[8:9] offset:24 th:TH_ATOMIC_RETURN scope:SCOPE_SYS
	s_wait_loadcnt 0x0
	v_cmp_ne_u64_e32 vcc_lo, v[6:7], v[12:13]
	s_and_b32 exec_lo, exec_lo, vcc_lo
	s_cbranch_execz .LBB3_166
; %bb.164:
	s_mov_b32 s3, 0
.LBB3_165:                              ; =>This Inner Loop Header: Depth=1
	v_dual_mov_b32 v4, s10 :: v_dual_mov_b32 v5, s11
	s_sleep 1
	global_store_b64 v[8:9], v[6:7], off
	global_wb scope:SCOPE_SYS
	s_wait_storecnt 0x0
	s_wait_xcnt 0x0
	global_atomic_cmpswap_b64 v[4:5], v1, v[4:7], s[8:9] offset:24 th:TH_ATOMIC_RETURN scope:SCOPE_SYS
	s_wait_loadcnt 0x0
	v_cmp_eq_u64_e32 vcc_lo, v[4:5], v[6:7]
	v_mov_b64_e32 v[6:7], v[4:5]
	s_or_b32 s3, vcc_lo, s3
	s_delay_alu instid0(SALU_CYCLE_1)
	s_and_not1_b32 exec_lo, exec_lo, s3
	s_cbranch_execnz .LBB3_165
.LBB3_166:
	s_or_b32 exec_lo, exec_lo, s13
	v_readfirstlane_b32 s3, v29
	v_mov_b64_e32 v[4:5], 0
	s_delay_alu instid0(VALU_DEP_2)
	v_cmp_eq_u32_e64 s3, s3, v29
	s_and_saveexec_b32 s10, s3
	s_cbranch_execz .LBB3_172
; %bb.167:
	v_mov_b32_e32 v1, 0
	s_mov_b32 s11, exec_lo
	global_load_b64 v[6:7], v1, s[8:9] offset:24 scope:SCOPE_SYS
	s_wait_loadcnt 0x0
	global_inv scope:SCOPE_SYS
	s_clause 0x1
	global_load_b64 v[4:5], v1, s[8:9] offset:40
	global_load_b64 v[8:9], v1, s[8:9]
	s_wait_loadcnt 0x1
	v_and_b32_e32 v4, v4, v6
	v_and_b32_e32 v5, v5, v7
	s_delay_alu instid0(VALU_DEP_1) | instskip(SKIP_1) | instid1(VALU_DEP_1)
	v_mul_u64_e32 v[4:5], 24, v[4:5]
	s_wait_loadcnt 0x0
	v_add_nc_u64_e32 v[4:5], v[8:9], v[4:5]
	global_load_b64 v[4:5], v[4:5], off scope:SCOPE_SYS
	s_wait_xcnt 0x0
	s_wait_loadcnt 0x0
	global_atomic_cmpswap_b64 v[4:5], v1, v[4:7], s[8:9] offset:24 th:TH_ATOMIC_RETURN scope:SCOPE_SYS
	s_wait_loadcnt 0x0
	global_inv scope:SCOPE_SYS
	s_wait_xcnt 0x0
	v_cmpx_ne_u64_e64 v[4:5], v[6:7]
	s_cbranch_execz .LBB3_171
; %bb.168:
	s_mov_b32 s13, 0
.LBB3_169:                              ; =>This Inner Loop Header: Depth=1
	s_sleep 1
	s_clause 0x1
	global_load_b64 v[8:9], v1, s[8:9] offset:40
	global_load_b64 v[10:11], v1, s[8:9]
	v_mov_b64_e32 v[6:7], v[4:5]
	s_wait_loadcnt 0x1
	s_delay_alu instid0(VALU_DEP_1) | instskip(NEXT) | instid1(VALU_DEP_2)
	v_and_b32_e32 v4, v8, v6
	v_and_b32_e32 v8, v9, v7
	s_wait_loadcnt 0x0
	s_delay_alu instid0(VALU_DEP_2) | instskip(NEXT) | instid1(VALU_DEP_1)
	v_mad_nc_u64_u32 v[4:5], v4, 24, v[10:11]
	v_mad_u32 v5, v8, 24, v5
	global_load_b64 v[4:5], v[4:5], off scope:SCOPE_SYS
	s_wait_xcnt 0x0
	s_wait_loadcnt 0x0
	global_atomic_cmpswap_b64 v[4:5], v1, v[4:7], s[8:9] offset:24 th:TH_ATOMIC_RETURN scope:SCOPE_SYS
	s_wait_loadcnt 0x0
	global_inv scope:SCOPE_SYS
	v_cmp_eq_u64_e32 vcc_lo, v[4:5], v[6:7]
	s_or_b32 s13, vcc_lo, s13
	s_wait_xcnt 0x0
	s_and_not1_b32 exec_lo, exec_lo, s13
	s_cbranch_execnz .LBB3_169
; %bb.170:
	s_or_b32 exec_lo, exec_lo, s13
.LBB3_171:
	s_delay_alu instid0(SALU_CYCLE_1)
	s_or_b32 exec_lo, exec_lo, s11
.LBB3_172:
	s_delay_alu instid0(SALU_CYCLE_1)
	s_or_b32 exec_lo, exec_lo, s10
	v_readfirstlane_b32 s10, v4
	v_mov_b32_e32 v1, 0
	v_readfirstlane_b32 s11, v5
	s_mov_b32 s13, exec_lo
	s_clause 0x1
	global_load_b64 v[10:11], v1, s[8:9] offset:40
	global_load_b128 v[6:9], v1, s[8:9]
	s_wait_loadcnt 0x1
	v_and_b32_e32 v4, s10, v10
	v_and_b32_e32 v5, s11, v11
	s_delay_alu instid0(VALU_DEP_1) | instskip(SKIP_1) | instid1(VALU_DEP_1)
	v_mul_u64_e32 v[10:11], 24, v[4:5]
	s_wait_loadcnt 0x0
	v_add_nc_u64_e32 v[10:11], v[6:7], v[10:11]
	s_wait_xcnt 0x0
	s_and_saveexec_b32 s14, s3
	s_cbranch_execz .LBB3_174
; %bb.173:
	v_mov_b64_e32 v[14:15], 0x100000002
	v_dual_mov_b32 v12, s13 :: v_dual_mov_b32 v13, v1
	global_store_b128 v[10:11], v[12:15], off offset:8
.LBB3_174:
	s_wait_xcnt 0x0
	s_or_b32 exec_lo, exec_lo, s14
	v_lshlrev_b64_e32 v[12:13], 12, v[4:5]
	s_mov_b32 s16, 0
	v_dual_cndmask_b32 v4, -1, v31, s2 :: v_dual_mov_b32 v5, v1
	s_mov_b32 s17, s16
	s_mov_b32 s18, s16
	;; [unrolled: 1-line block ×3, first 2 shown]
	s_delay_alu instid0(VALU_DEP_2) | instskip(SKIP_3) | instid1(VALU_DEP_4)
	v_add_nc_u64_e32 v[8:9], v[8:9], v[12:13]
	v_mov_b64_e32 v[12:13], s[16:17]
	v_mov_b64_e32 v[14:15], s[18:19]
	v_and_or_b32 v2, 0xffffff1f, v2, 32
	v_readfirstlane_b32 s14, v8
	v_readfirstlane_b32 s15, v9
	s_clause 0x3
	global_store_b128 v0, v[2:5], s[14:15]
	global_store_b128 v0, v[12:15], s[14:15] offset:16
	global_store_b128 v0, v[12:15], s[14:15] offset:32
	;; [unrolled: 1-line block ×3, first 2 shown]
	s_wait_xcnt 0x0
	s_and_saveexec_b32 s2, s3
	s_cbranch_execz .LBB3_182
; %bb.175:
	v_dual_mov_b32 v12, 0 :: v_dual_mov_b32 v15, s11
	s_mov_b32 s13, exec_lo
	s_clause 0x1
	global_load_b64 v[16:17], v12, s[8:9] offset:32 scope:SCOPE_SYS
	global_load_b64 v[2:3], v12, s[8:9] offset:40
	s_wait_loadcnt 0x0
	v_dual_mov_b32 v14, s10 :: v_dual_bitop2_b32 v3, s11, v3 bitop3:0x40
	v_and_b32_e32 v2, s10, v2
	s_delay_alu instid0(VALU_DEP_1) | instskip(NEXT) | instid1(VALU_DEP_1)
	v_mul_u64_e32 v[2:3], 24, v[2:3]
	v_add_nc_u64_e32 v[6:7], v[6:7], v[2:3]
	global_store_b64 v[6:7], v[16:17], off
	global_wb scope:SCOPE_SYS
	s_wait_storecnt 0x0
	s_wait_xcnt 0x0
	global_atomic_cmpswap_b64 v[4:5], v12, v[14:17], s[8:9] offset:32 th:TH_ATOMIC_RETURN scope:SCOPE_SYS
	s_wait_loadcnt 0x0
	v_cmpx_ne_u64_e64 v[4:5], v[16:17]
	s_cbranch_execz .LBB3_178
; %bb.176:
	s_mov_b32 s14, 0
.LBB3_177:                              ; =>This Inner Loop Header: Depth=1
	v_dual_mov_b32 v2, s10 :: v_dual_mov_b32 v3, s11
	s_sleep 1
	global_store_b64 v[6:7], v[4:5], off
	global_wb scope:SCOPE_SYS
	s_wait_storecnt 0x0
	s_wait_xcnt 0x0
	global_atomic_cmpswap_b64 v[2:3], v12, v[2:5], s[8:9] offset:32 th:TH_ATOMIC_RETURN scope:SCOPE_SYS
	s_wait_loadcnt 0x0
	v_cmp_eq_u64_e32 vcc_lo, v[2:3], v[4:5]
	v_mov_b64_e32 v[4:5], v[2:3]
	s_or_b32 s14, vcc_lo, s14
	s_delay_alu instid0(SALU_CYCLE_1)
	s_and_not1_b32 exec_lo, exec_lo, s14
	s_cbranch_execnz .LBB3_177
.LBB3_178:
	s_or_b32 exec_lo, exec_lo, s13
	v_mov_b32_e32 v5, 0
	s_mov_b32 s14, exec_lo
	s_mov_b32 s13, exec_lo
	v_mbcnt_lo_u32_b32 v4, s14, 0
	global_load_b64 v[2:3], v5, s[8:9] offset:16
	s_wait_xcnt 0x0
	v_cmpx_eq_u32_e32 0, v4
	s_cbranch_execz .LBB3_180
; %bb.179:
	s_bcnt1_i32_b32 s14, s14
	s_delay_alu instid0(SALU_CYCLE_1)
	v_mov_b32_e32 v4, s14
	global_wb scope:SCOPE_SYS
	s_wait_loadcnt 0x0
	s_wait_storecnt 0x0
	global_atomic_add_u64 v[2:3], v[4:5], off offset:8 scope:SCOPE_SYS
.LBB3_180:
	s_wait_xcnt 0x0
	s_or_b32 exec_lo, exec_lo, s13
	s_wait_loadcnt 0x0
	global_load_b64 v[4:5], v[2:3], off offset:16
	s_wait_loadcnt 0x0
	v_cmp_eq_u64_e32 vcc_lo, 0, v[4:5]
	s_cbranch_vccnz .LBB3_182
; %bb.181:
	global_load_b32 v2, v[2:3], off offset:24
	s_wait_xcnt 0x0
	v_mov_b32_e32 v3, 0
	s_wait_loadcnt 0x0
	v_readfirstlane_b32 s13, v2
	global_wb scope:SCOPE_SYS
	s_wait_storecnt 0x0
	global_store_b64 v[4:5], v[2:3], off scope:SCOPE_SYS
	s_and_b32 m0, s13, 0xffffff
	s_sendmsg sendmsg(MSG_INTERRUPT)
.LBB3_182:
	s_wait_xcnt 0x0
	s_or_b32 exec_lo, exec_lo, s2
	v_add_nc_u64_e32 v[2:3], v[8:9], v[0:1]
	s_branch .LBB3_186
.LBB3_183:                              ;   in Loop: Header=BB3_186 Depth=1
	s_wait_xcnt 0x0
	s_or_b32 exec_lo, exec_lo, s2
	s_delay_alu instid0(VALU_DEP_1)
	v_readfirstlane_b32 s2, v1
	s_cmp_eq_u32 s2, 0
	s_cbranch_scc1 .LBB3_185
; %bb.184:                              ;   in Loop: Header=BB3_186 Depth=1
	s_sleep 1
	s_cbranch_execnz .LBB3_186
	s_branch .LBB3_188
.LBB3_185:
	s_branch .LBB3_188
.LBB3_186:                              ; =>This Inner Loop Header: Depth=1
	v_mov_b32_e32 v1, 1
	s_and_saveexec_b32 s2, s3
	s_cbranch_execz .LBB3_183
; %bb.187:                              ;   in Loop: Header=BB3_186 Depth=1
	global_load_b32 v1, v[10:11], off offset:20 scope:SCOPE_SYS
	s_wait_loadcnt 0x0
	global_inv scope:SCOPE_SYS
	v_and_b32_e32 v1, 1, v1
	s_branch .LBB3_183
.LBB3_188:
	global_load_b64 v[2:3], v[2:3], off
	s_wait_xcnt 0x0
	s_and_saveexec_b32 s13, s3
	s_cbranch_execz .LBB3_192
; %bb.189:
	v_mov_b32_e32 v1, 0
	s_clause 0x2
	global_load_b64 v[4:5], v1, s[8:9] offset:40
	global_load_b64 v[12:13], v1, s[8:9] offset:24 scope:SCOPE_SYS
	global_load_b64 v[6:7], v1, s[8:9]
	s_wait_loadcnt 0x2
	v_readfirstlane_b32 s14, v4
	v_readfirstlane_b32 s15, v5
	s_add_nc_u64 s[2:3], s[14:15], 1
	s_delay_alu instid0(SALU_CYCLE_1) | instskip(NEXT) | instid1(SALU_CYCLE_1)
	s_add_nc_u64 s[10:11], s[2:3], s[10:11]
	s_cmp_eq_u64 s[10:11], 0
	s_cselect_b32 s3, s3, s11
	s_cselect_b32 s2, s2, s10
	v_mov_b32_e32 v11, s3
	s_and_b64 s[10:11], s[2:3], s[14:15]
	v_mov_b32_e32 v10, s2
	s_mul_u64 s[10:11], s[10:11], 24
	s_wait_loadcnt 0x0
	v_add_nc_u64_e32 v[8:9], s[10:11], v[6:7]
	global_store_b64 v[8:9], v[12:13], off
	global_wb scope:SCOPE_SYS
	s_wait_storecnt 0x0
	s_wait_xcnt 0x0
	global_atomic_cmpswap_b64 v[6:7], v1, v[10:13], s[8:9] offset:24 th:TH_ATOMIC_RETURN scope:SCOPE_SYS
	s_wait_loadcnt 0x0
	v_cmp_ne_u64_e32 vcc_lo, v[6:7], v[12:13]
	s_and_b32 exec_lo, exec_lo, vcc_lo
	s_cbranch_execz .LBB3_192
; %bb.190:
	s_mov_b32 s10, 0
.LBB3_191:                              ; =>This Inner Loop Header: Depth=1
	v_dual_mov_b32 v4, s2 :: v_dual_mov_b32 v5, s3
	s_sleep 1
	global_store_b64 v[8:9], v[6:7], off
	global_wb scope:SCOPE_SYS
	s_wait_storecnt 0x0
	s_wait_xcnt 0x0
	global_atomic_cmpswap_b64 v[4:5], v1, v[4:7], s[8:9] offset:24 th:TH_ATOMIC_RETURN scope:SCOPE_SYS
	s_wait_loadcnt 0x0
	v_cmp_eq_u64_e32 vcc_lo, v[4:5], v[6:7]
	v_mov_b64_e32 v[6:7], v[4:5]
	s_or_b32 s10, vcc_lo, s10
	s_delay_alu instid0(SALU_CYCLE_1)
	s_and_not1_b32 exec_lo, exec_lo, s10
	s_cbranch_execnz .LBB3_191
.LBB3_192:
	s_or_b32 exec_lo, exec_lo, s13
	v_readfirstlane_b32 s2, v29
	v_mov_b64_e32 v[10:11], 0
	s_delay_alu instid0(VALU_DEP_2)
	v_cmp_eq_u32_e64 s2, s2, v29
	s_and_saveexec_b32 s3, s2
	s_cbranch_execz .LBB3_198
; %bb.193:
	v_mov_b32_e32 v1, 0
	s_mov_b32 s10, exec_lo
	global_load_b64 v[6:7], v1, s[8:9] offset:24 scope:SCOPE_SYS
	s_wait_loadcnt 0x0
	global_inv scope:SCOPE_SYS
	s_clause 0x1
	global_load_b64 v[4:5], v1, s[8:9] offset:40
	global_load_b64 v[8:9], v1, s[8:9]
	s_wait_loadcnt 0x1
	v_and_b32_e32 v4, v4, v6
	v_and_b32_e32 v5, v5, v7
	s_delay_alu instid0(VALU_DEP_1) | instskip(SKIP_1) | instid1(VALU_DEP_1)
	v_mul_u64_e32 v[4:5], 24, v[4:5]
	s_wait_loadcnt 0x0
	v_add_nc_u64_e32 v[4:5], v[8:9], v[4:5]
	global_load_b64 v[4:5], v[4:5], off scope:SCOPE_SYS
	s_wait_xcnt 0x0
	s_wait_loadcnt 0x0
	global_atomic_cmpswap_b64 v[10:11], v1, v[4:7], s[8:9] offset:24 th:TH_ATOMIC_RETURN scope:SCOPE_SYS
	s_wait_loadcnt 0x0
	global_inv scope:SCOPE_SYS
	s_wait_xcnt 0x0
	v_cmpx_ne_u64_e64 v[10:11], v[6:7]
	s_cbranch_execz .LBB3_197
; %bb.194:
	s_mov_b32 s11, 0
.LBB3_195:                              ; =>This Inner Loop Header: Depth=1
	s_sleep 1
	s_clause 0x1
	global_load_b64 v[4:5], v1, s[8:9] offset:40
	global_load_b64 v[8:9], v1, s[8:9]
	v_mov_b64_e32 v[6:7], v[10:11]
	s_wait_loadcnt 0x1
	s_delay_alu instid0(VALU_DEP_1) | instskip(SKIP_1) | instid1(VALU_DEP_1)
	v_and_b32_e32 v4, v4, v6
	s_wait_loadcnt 0x0
	v_mad_nc_u64_u32 v[8:9], v4, 24, v[8:9]
	s_delay_alu instid0(VALU_DEP_3) | instskip(NEXT) | instid1(VALU_DEP_1)
	v_and_b32_e32 v4, v5, v7
	v_mad_u32 v9, v4, 24, v9
	global_load_b64 v[4:5], v[8:9], off scope:SCOPE_SYS
	s_wait_xcnt 0x0
	s_wait_loadcnt 0x0
	global_atomic_cmpswap_b64 v[10:11], v1, v[4:7], s[8:9] offset:24 th:TH_ATOMIC_RETURN scope:SCOPE_SYS
	s_wait_loadcnt 0x0
	global_inv scope:SCOPE_SYS
	v_cmp_eq_u64_e32 vcc_lo, v[10:11], v[6:7]
	s_or_b32 s11, vcc_lo, s11
	s_wait_xcnt 0x0
	s_and_not1_b32 exec_lo, exec_lo, s11
	s_cbranch_execnz .LBB3_195
; %bb.196:
	s_or_b32 exec_lo, exec_lo, s11
.LBB3_197:
	s_delay_alu instid0(SALU_CYCLE_1)
	s_or_b32 exec_lo, exec_lo, s10
.LBB3_198:
	s_delay_alu instid0(SALU_CYCLE_1)
	s_or_b32 exec_lo, exec_lo, s3
	v_readfirstlane_b32 s10, v10
	v_mov_b32_e32 v5, 0
	v_readfirstlane_b32 s11, v11
	s_mov_b32 s3, exec_lo
	s_clause 0x1
	global_load_b64 v[12:13], v5, s[8:9] offset:40
	global_load_b128 v[6:9], v5, s[8:9]
	s_wait_loadcnt 0x1
	v_and_b32_e32 v12, s10, v12
	v_and_b32_e32 v13, s11, v13
	s_delay_alu instid0(VALU_DEP_1) | instskip(SKIP_1) | instid1(VALU_DEP_1)
	v_mul_u64_e32 v[10:11], 24, v[12:13]
	s_wait_loadcnt 0x0
	v_add_nc_u64_e32 v[10:11], v[6:7], v[10:11]
	s_wait_xcnt 0x0
	s_and_saveexec_b32 s13, s2
	s_cbranch_execz .LBB3_200
; %bb.199:
	v_mov_b32_e32 v4, s3
	v_mov_b64_e32 v[16:17], 0x100000002
	s_delay_alu instid0(VALU_DEP_2)
	v_mov_b64_e32 v[14:15], v[4:5]
	global_store_b128 v[10:11], v[14:17], off offset:8
.LBB3_200:
	s_wait_xcnt 0x0
	s_or_b32 exec_lo, exec_lo, s13
	v_lshlrev_b64_e32 v[12:13], 12, v[12:13]
	s_mul_i32 s3, s12, s22
	s_mov_b32 s12, 0
	s_lshr_b32 s3, s3, 1
	s_mov_b32 s13, s12
	s_mov_b32 s14, s12
	;; [unrolled: 1-line block ×3, first 2 shown]
	v_add_nc_u64_e32 v[8:9], v[8:9], v[12:13]
	v_mov_b64_e32 v[12:13], s[12:13]
	v_mov_b64_e32 v[14:15], s[14:15]
	v_and_or_b32 v2, 0xffffff1d, v2, 34
	v_mov_b32_e32 v4, s3
	v_readfirstlane_b32 s16, v8
	v_readfirstlane_b32 s17, v9
	s_clause 0x3
	global_store_b128 v0, v[2:5], s[16:17]
	global_store_b128 v0, v[12:15], s[16:17] offset:16
	global_store_b128 v0, v[12:15], s[16:17] offset:32
	;; [unrolled: 1-line block ×3, first 2 shown]
	s_wait_xcnt 0x0
	s_and_saveexec_b32 s3, s2
	s_cbranch_execz .LBB3_208
; %bb.201:
	v_dual_mov_b32 v1, 0 :: v_dual_mov_b32 v13, s11
	s_mov_b32 s12, exec_lo
	s_clause 0x1
	global_load_b64 v[14:15], v1, s[8:9] offset:32 scope:SCOPE_SYS
	global_load_b64 v[2:3], v1, s[8:9] offset:40
	s_wait_loadcnt 0x0
	v_dual_mov_b32 v12, s10 :: v_dual_bitop2_b32 v3, s11, v3 bitop3:0x40
	v_and_b32_e32 v2, s10, v2
	s_delay_alu instid0(VALU_DEP_1) | instskip(NEXT) | instid1(VALU_DEP_1)
	v_mul_u64_e32 v[2:3], 24, v[2:3]
	v_add_nc_u64_e32 v[6:7], v[6:7], v[2:3]
	global_store_b64 v[6:7], v[14:15], off
	global_wb scope:SCOPE_SYS
	s_wait_storecnt 0x0
	s_wait_xcnt 0x0
	global_atomic_cmpswap_b64 v[4:5], v1, v[12:15], s[8:9] offset:32 th:TH_ATOMIC_RETURN scope:SCOPE_SYS
	s_wait_loadcnt 0x0
	v_cmpx_ne_u64_e64 v[4:5], v[14:15]
	s_cbranch_execz .LBB3_204
; %bb.202:
	s_mov_b32 s13, 0
.LBB3_203:                              ; =>This Inner Loop Header: Depth=1
	v_dual_mov_b32 v2, s10 :: v_dual_mov_b32 v3, s11
	s_sleep 1
	global_store_b64 v[6:7], v[4:5], off
	global_wb scope:SCOPE_SYS
	s_wait_storecnt 0x0
	s_wait_xcnt 0x0
	global_atomic_cmpswap_b64 v[2:3], v1, v[2:5], s[8:9] offset:32 th:TH_ATOMIC_RETURN scope:SCOPE_SYS
	s_wait_loadcnt 0x0
	v_cmp_eq_u64_e32 vcc_lo, v[2:3], v[4:5]
	v_mov_b64_e32 v[4:5], v[2:3]
	s_or_b32 s13, vcc_lo, s13
	s_delay_alu instid0(SALU_CYCLE_1)
	s_and_not1_b32 exec_lo, exec_lo, s13
	s_cbranch_execnz .LBB3_203
.LBB3_204:
	s_or_b32 exec_lo, exec_lo, s12
	v_mov_b32_e32 v5, 0
	s_mov_b32 s13, exec_lo
	s_mov_b32 s12, exec_lo
	v_mbcnt_lo_u32_b32 v1, s13, 0
	global_load_b64 v[2:3], v5, s[8:9] offset:16
	s_wait_xcnt 0x0
	v_cmpx_eq_u32_e32 0, v1
	s_cbranch_execz .LBB3_206
; %bb.205:
	s_bcnt1_i32_b32 s13, s13
	s_delay_alu instid0(SALU_CYCLE_1)
	v_mov_b32_e32 v4, s13
	global_wb scope:SCOPE_SYS
	s_wait_loadcnt 0x0
	s_wait_storecnt 0x0
	global_atomic_add_u64 v[2:3], v[4:5], off offset:8 scope:SCOPE_SYS
.LBB3_206:
	s_wait_xcnt 0x0
	s_or_b32 exec_lo, exec_lo, s12
	s_wait_loadcnt 0x0
	global_load_b64 v[4:5], v[2:3], off offset:16
	s_wait_loadcnt 0x0
	v_cmp_eq_u64_e32 vcc_lo, 0, v[4:5]
	s_cbranch_vccnz .LBB3_208
; %bb.207:
	global_load_b32 v2, v[2:3], off offset:24
	s_wait_xcnt 0x0
	v_mov_b32_e32 v3, 0
	s_wait_loadcnt 0x0
	v_readfirstlane_b32 s12, v2
	global_wb scope:SCOPE_SYS
	s_wait_storecnt 0x0
	global_store_b64 v[4:5], v[2:3], off scope:SCOPE_SYS
	s_and_b32 m0, s12, 0xffffff
	s_sendmsg sendmsg(MSG_INTERRUPT)
.LBB3_208:
	s_wait_xcnt 0x0
	s_or_b32 exec_lo, exec_lo, s3
	s_branch .LBB3_212
.LBB3_209:                              ;   in Loop: Header=BB3_212 Depth=1
	s_wait_xcnt 0x0
	s_or_b32 exec_lo, exec_lo, s3
	s_delay_alu instid0(VALU_DEP_1)
	v_readfirstlane_b32 s3, v1
	s_cmp_eq_u32 s3, 0
	s_cbranch_scc1 .LBB3_211
; %bb.210:                              ;   in Loop: Header=BB3_212 Depth=1
	s_sleep 1
	s_cbranch_execnz .LBB3_212
	s_branch .LBB3_214
.LBB3_211:
	s_branch .LBB3_214
.LBB3_212:                              ; =>This Inner Loop Header: Depth=1
	v_mov_b32_e32 v1, 1
	s_and_saveexec_b32 s3, s2
	s_cbranch_execz .LBB3_209
; %bb.213:                              ;   in Loop: Header=BB3_212 Depth=1
	global_load_b32 v1, v[10:11], off offset:20 scope:SCOPE_SYS
	s_wait_loadcnt 0x0
	global_inv scope:SCOPE_SYS
	v_and_b32_e32 v1, 1, v1
	s_branch .LBB3_209
.LBB3_214:
	s_and_saveexec_b32 s12, s2
	s_cbranch_execz .LBB3_218
; %bb.215:
	v_mov_b32_e32 v1, 0
	s_clause 0x2
	global_load_b64 v[2:3], v1, s[8:9] offset:40
	global_load_b64 v[10:11], v1, s[8:9] offset:24 scope:SCOPE_SYS
	global_load_b64 v[4:5], v1, s[8:9]
	s_wait_loadcnt 0x2
	v_readfirstlane_b32 s14, v2
	v_readfirstlane_b32 s15, v3
	s_add_nc_u64 s[2:3], s[14:15], 1
	s_delay_alu instid0(SALU_CYCLE_1) | instskip(NEXT) | instid1(SALU_CYCLE_1)
	s_add_nc_u64 s[10:11], s[2:3], s[10:11]
	s_cmp_eq_u64 s[10:11], 0
	s_cselect_b32 s3, s3, s11
	s_cselect_b32 s2, s2, s10
	v_mov_b32_e32 v9, s3
	s_and_b64 s[10:11], s[2:3], s[14:15]
	v_mov_b32_e32 v8, s2
	s_mul_u64 s[10:11], s[10:11], 24
	s_wait_loadcnt 0x0
	v_add_nc_u64_e32 v[6:7], s[10:11], v[4:5]
	global_store_b64 v[6:7], v[10:11], off
	global_wb scope:SCOPE_SYS
	s_wait_storecnt 0x0
	s_wait_xcnt 0x0
	global_atomic_cmpswap_b64 v[4:5], v1, v[8:11], s[8:9] offset:24 th:TH_ATOMIC_RETURN scope:SCOPE_SYS
	s_wait_loadcnt 0x0
	v_cmp_ne_u64_e32 vcc_lo, v[4:5], v[10:11]
	s_and_b32 exec_lo, exec_lo, vcc_lo
	s_cbranch_execz .LBB3_218
; %bb.216:
	s_mov_b32 s10, 0
.LBB3_217:                              ; =>This Inner Loop Header: Depth=1
	v_dual_mov_b32 v2, s2 :: v_dual_mov_b32 v3, s3
	s_sleep 1
	global_store_b64 v[6:7], v[4:5], off
	global_wb scope:SCOPE_SYS
	s_wait_storecnt 0x0
	s_wait_xcnt 0x0
	global_atomic_cmpswap_b64 v[2:3], v1, v[2:5], s[8:9] offset:24 th:TH_ATOMIC_RETURN scope:SCOPE_SYS
	s_wait_loadcnt 0x0
	v_cmp_eq_u64_e32 vcc_lo, v[2:3], v[4:5]
	v_mov_b64_e32 v[4:5], v[2:3]
	s_or_b32 s10, vcc_lo, s10
	s_delay_alu instid0(SALU_CYCLE_1)
	s_and_not1_b32 exec_lo, exec_lo, s10
	s_cbranch_execnz .LBB3_217
.LBB3_218:
	s_or_b32 exec_lo, exec_lo, s12
	v_readfirstlane_b32 s2, v29
	v_mov_b64_e32 v[6:7], 0
	s_delay_alu instid0(VALU_DEP_2)
	v_cmp_eq_u32_e64 s2, s2, v29
	s_and_saveexec_b32 s3, s2
	s_cbranch_execz .LBB3_224
; %bb.219:
	v_mov_b32_e32 v1, 0
	s_mov_b32 s10, exec_lo
	global_load_b64 v[4:5], v1, s[8:9] offset:24 scope:SCOPE_SYS
	s_wait_loadcnt 0x0
	global_inv scope:SCOPE_SYS
	s_clause 0x1
	global_load_b64 v[2:3], v1, s[8:9] offset:40
	global_load_b64 v[6:7], v1, s[8:9]
	s_wait_loadcnt 0x1
	v_and_b32_e32 v2, v2, v4
	v_and_b32_e32 v3, v3, v5
	s_delay_alu instid0(VALU_DEP_1) | instskip(SKIP_1) | instid1(VALU_DEP_1)
	v_mul_u64_e32 v[2:3], 24, v[2:3]
	s_wait_loadcnt 0x0
	v_add_nc_u64_e32 v[2:3], v[6:7], v[2:3]
	global_load_b64 v[2:3], v[2:3], off scope:SCOPE_SYS
	s_wait_xcnt 0x0
	s_wait_loadcnt 0x0
	global_atomic_cmpswap_b64 v[6:7], v1, v[2:5], s[8:9] offset:24 th:TH_ATOMIC_RETURN scope:SCOPE_SYS
	s_wait_loadcnt 0x0
	global_inv scope:SCOPE_SYS
	s_wait_xcnt 0x0
	v_cmpx_ne_u64_e64 v[6:7], v[4:5]
	s_cbranch_execz .LBB3_223
; %bb.220:
	s_mov_b32 s11, 0
.LBB3_221:                              ; =>This Inner Loop Header: Depth=1
	s_sleep 1
	s_clause 0x1
	global_load_b64 v[2:3], v1, s[8:9] offset:40
	global_load_b64 v[8:9], v1, s[8:9]
	v_mov_b64_e32 v[4:5], v[6:7]
	s_wait_loadcnt 0x1
	s_delay_alu instid0(VALU_DEP_1) | instskip(SKIP_1) | instid1(VALU_DEP_1)
	v_and_b32_e32 v2, v2, v4
	s_wait_loadcnt 0x0
	v_mad_nc_u64_u32 v[6:7], v2, 24, v[8:9]
	s_delay_alu instid0(VALU_DEP_3) | instskip(NEXT) | instid1(VALU_DEP_1)
	v_and_b32_e32 v2, v3, v5
	v_mad_u32 v7, v2, 24, v7
	global_load_b64 v[2:3], v[6:7], off scope:SCOPE_SYS
	s_wait_xcnt 0x0
	s_wait_loadcnt 0x0
	global_atomic_cmpswap_b64 v[6:7], v1, v[2:5], s[8:9] offset:24 th:TH_ATOMIC_RETURN scope:SCOPE_SYS
	s_wait_loadcnt 0x0
	global_inv scope:SCOPE_SYS
	v_cmp_eq_u64_e32 vcc_lo, v[6:7], v[4:5]
	s_or_b32 s11, vcc_lo, s11
	s_wait_xcnt 0x0
	s_and_not1_b32 exec_lo, exec_lo, s11
	s_cbranch_execnz .LBB3_221
; %bb.222:
	s_or_b32 exec_lo, exec_lo, s11
.LBB3_223:
	s_delay_alu instid0(SALU_CYCLE_1)
	s_or_b32 exec_lo, exec_lo, s10
.LBB3_224:
	s_delay_alu instid0(SALU_CYCLE_1)
	s_or_b32 exec_lo, exec_lo, s3
	v_readfirstlane_b32 s10, v6
	v_mov_b32_e32 v1, 0
	v_readfirstlane_b32 s11, v7
	s_mov_b32 s3, exec_lo
	s_clause 0x1
	global_load_b64 v[8:9], v1, s[8:9] offset:40
	global_load_b128 v[2:5], v1, s[8:9]
	s_wait_loadcnt 0x1
	v_and_b32_e32 v8, s10, v8
	v_and_b32_e32 v9, s11, v9
	s_delay_alu instid0(VALU_DEP_1) | instskip(SKIP_1) | instid1(VALU_DEP_1)
	v_mul_u64_e32 v[6:7], 24, v[8:9]
	s_wait_loadcnt 0x0
	v_add_nc_u64_e32 v[6:7], v[2:3], v[6:7]
	s_wait_xcnt 0x0
	s_and_saveexec_b32 s12, s2
	s_cbranch_execz .LBB3_226
; %bb.225:
	v_mov_b64_e32 v[12:13], 0x100000002
	v_dual_mov_b32 v10, s3 :: v_dual_mov_b32 v11, v1
	global_store_b128 v[6:7], v[10:13], off offset:8
.LBB3_226:
	s_wait_xcnt 0x0
	s_or_b32 exec_lo, exec_lo, s12
	v_lshlrev_b64_e32 v[8:9], 12, v[8:9]
	s_mov_b32 s12, 0
	v_dual_mov_b32 v10, 33 :: v_dual_mov_b32 v11, v1
	s_mov_b32 s14, s12
	s_mov_b32 s15, s12
	;; [unrolled: 1-line block ×3, first 2 shown]
	s_delay_alu instid0(VALU_DEP_2) | instskip(SKIP_3) | instid1(VALU_DEP_4)
	v_add_nc_u64_e32 v[8:9], v[4:5], v[8:9]
	v_mov_b64_e32 v[16:17], s[14:15]
	v_mov_b64_e32 v[14:15], s[12:13]
	v_dual_mov_b32 v12, v1 :: v_dual_mov_b32 v13, v1
	v_readfirstlane_b32 s16, v8
	v_readfirstlane_b32 s17, v9
	s_clause 0x3
	global_store_b128 v0, v[10:13], s[16:17]
	global_store_b128 v0, v[14:17], s[16:17] offset:16
	global_store_b128 v0, v[14:17], s[16:17] offset:32
	;; [unrolled: 1-line block ×3, first 2 shown]
	s_wait_xcnt 0x0
	s_and_saveexec_b32 s3, s2
	s_cbranch_execz .LBB3_234
; %bb.227:
	v_dual_mov_b32 v12, 0 :: v_dual_mov_b32 v15, s11
	s_mov_b32 s12, exec_lo
	s_clause 0x1
	global_load_b64 v[16:17], v12, s[8:9] offset:32 scope:SCOPE_SYS
	global_load_b64 v[4:5], v12, s[8:9] offset:40
	s_wait_loadcnt 0x0
	v_dual_mov_b32 v14, s10 :: v_dual_bitop2_b32 v5, s11, v5 bitop3:0x40
	v_and_b32_e32 v4, s10, v4
	s_delay_alu instid0(VALU_DEP_1) | instskip(NEXT) | instid1(VALU_DEP_1)
	v_mul_u64_e32 v[4:5], 24, v[4:5]
	v_add_nc_u64_e32 v[10:11], v[2:3], v[4:5]
	global_store_b64 v[10:11], v[16:17], off
	global_wb scope:SCOPE_SYS
	s_wait_storecnt 0x0
	s_wait_xcnt 0x0
	global_atomic_cmpswap_b64 v[4:5], v12, v[14:17], s[8:9] offset:32 th:TH_ATOMIC_RETURN scope:SCOPE_SYS
	s_wait_loadcnt 0x0
	v_cmpx_ne_u64_e64 v[4:5], v[16:17]
	s_cbranch_execz .LBB3_230
; %bb.228:
	s_mov_b32 s13, 0
.LBB3_229:                              ; =>This Inner Loop Header: Depth=1
	v_dual_mov_b32 v2, s10 :: v_dual_mov_b32 v3, s11
	s_sleep 1
	global_store_b64 v[10:11], v[4:5], off
	global_wb scope:SCOPE_SYS
	s_wait_storecnt 0x0
	s_wait_xcnt 0x0
	global_atomic_cmpswap_b64 v[2:3], v12, v[2:5], s[8:9] offset:32 th:TH_ATOMIC_RETURN scope:SCOPE_SYS
	s_wait_loadcnt 0x0
	v_cmp_eq_u64_e32 vcc_lo, v[2:3], v[4:5]
	v_mov_b64_e32 v[4:5], v[2:3]
	s_or_b32 s13, vcc_lo, s13
	s_delay_alu instid0(SALU_CYCLE_1)
	s_and_not1_b32 exec_lo, exec_lo, s13
	s_cbranch_execnz .LBB3_229
.LBB3_230:
	s_or_b32 exec_lo, exec_lo, s12
	v_mov_b32_e32 v5, 0
	s_mov_b32 s13, exec_lo
	s_mov_b32 s12, exec_lo
	v_mbcnt_lo_u32_b32 v4, s13, 0
	global_load_b64 v[2:3], v5, s[8:9] offset:16
	s_wait_xcnt 0x0
	v_cmpx_eq_u32_e32 0, v4
	s_cbranch_execz .LBB3_232
; %bb.231:
	s_bcnt1_i32_b32 s13, s13
	s_delay_alu instid0(SALU_CYCLE_1)
	v_mov_b32_e32 v4, s13
	global_wb scope:SCOPE_SYS
	s_wait_loadcnt 0x0
	s_wait_storecnt 0x0
	global_atomic_add_u64 v[2:3], v[4:5], off offset:8 scope:SCOPE_SYS
.LBB3_232:
	s_wait_xcnt 0x0
	s_or_b32 exec_lo, exec_lo, s12
	s_wait_loadcnt 0x0
	global_load_b64 v[4:5], v[2:3], off offset:16
	s_wait_loadcnt 0x0
	v_cmp_eq_u64_e32 vcc_lo, 0, v[4:5]
	s_cbranch_vccnz .LBB3_234
; %bb.233:
	global_load_b32 v2, v[2:3], off offset:24
	s_wait_xcnt 0x0
	v_mov_b32_e32 v3, 0
	s_wait_loadcnt 0x0
	v_readfirstlane_b32 s12, v2
	global_wb scope:SCOPE_SYS
	s_wait_storecnt 0x0
	global_store_b64 v[4:5], v[2:3], off scope:SCOPE_SYS
	s_and_b32 m0, s12, 0xffffff
	s_sendmsg sendmsg(MSG_INTERRUPT)
.LBB3_234:
	s_wait_xcnt 0x0
	s_or_b32 exec_lo, exec_lo, s3
	v_add_nc_u64_e32 v[2:3], v[8:9], v[0:1]
	s_branch .LBB3_238
.LBB3_235:                              ;   in Loop: Header=BB3_238 Depth=1
	s_wait_xcnt 0x0
	s_or_b32 exec_lo, exec_lo, s3
	s_delay_alu instid0(VALU_DEP_1)
	v_readfirstlane_b32 s3, v1
	s_cmp_eq_u32 s3, 0
	s_cbranch_scc1 .LBB3_237
; %bb.236:                              ;   in Loop: Header=BB3_238 Depth=1
	s_sleep 1
	s_cbranch_execnz .LBB3_238
	s_branch .LBB3_240
.LBB3_237:
	s_branch .LBB3_240
.LBB3_238:                              ; =>This Inner Loop Header: Depth=1
	v_mov_b32_e32 v1, 1
	s_and_saveexec_b32 s3, s2
	s_cbranch_execz .LBB3_235
; %bb.239:                              ;   in Loop: Header=BB3_238 Depth=1
	global_load_b32 v1, v[6:7], off offset:20 scope:SCOPE_SYS
	s_wait_loadcnt 0x0
	global_inv scope:SCOPE_SYS
	v_and_b32_e32 v1, 1, v1
	s_branch .LBB3_235
.LBB3_240:
	global_load_b64 v[2:3], v[2:3], off
	s_wait_xcnt 0x0
	s_and_saveexec_b32 s12, s2
	s_cbranch_execz .LBB3_244
; %bb.241:
	v_mov_b32_e32 v1, 0
	s_clause 0x2
	global_load_b64 v[4:5], v1, s[8:9] offset:40
	global_load_b64 v[12:13], v1, s[8:9] offset:24 scope:SCOPE_SYS
	global_load_b64 v[6:7], v1, s[8:9]
	s_wait_loadcnt 0x2
	v_readfirstlane_b32 s14, v4
	v_readfirstlane_b32 s15, v5
	s_add_nc_u64 s[2:3], s[14:15], 1
	s_delay_alu instid0(SALU_CYCLE_1) | instskip(NEXT) | instid1(SALU_CYCLE_1)
	s_add_nc_u64 s[10:11], s[2:3], s[10:11]
	s_cmp_eq_u64 s[10:11], 0
	s_cselect_b32 s3, s3, s11
	s_cselect_b32 s2, s2, s10
	v_mov_b32_e32 v11, s3
	s_and_b64 s[10:11], s[2:3], s[14:15]
	v_mov_b32_e32 v10, s2
	s_mul_u64 s[10:11], s[10:11], 24
	s_wait_loadcnt 0x0
	v_add_nc_u64_e32 v[8:9], s[10:11], v[6:7]
	global_store_b64 v[8:9], v[12:13], off
	global_wb scope:SCOPE_SYS
	s_wait_storecnt 0x0
	s_wait_xcnt 0x0
	global_atomic_cmpswap_b64 v[6:7], v1, v[10:13], s[8:9] offset:24 th:TH_ATOMIC_RETURN scope:SCOPE_SYS
	s_wait_loadcnt 0x0
	v_cmp_ne_u64_e32 vcc_lo, v[6:7], v[12:13]
	s_and_b32 exec_lo, exec_lo, vcc_lo
	s_cbranch_execz .LBB3_244
; %bb.242:
	s_mov_b32 s10, 0
.LBB3_243:                              ; =>This Inner Loop Header: Depth=1
	v_dual_mov_b32 v4, s2 :: v_dual_mov_b32 v5, s3
	s_sleep 1
	global_store_b64 v[8:9], v[6:7], off
	global_wb scope:SCOPE_SYS
	s_wait_storecnt 0x0
	s_wait_xcnt 0x0
	global_atomic_cmpswap_b64 v[4:5], v1, v[4:7], s[8:9] offset:24 th:TH_ATOMIC_RETURN scope:SCOPE_SYS
	s_wait_loadcnt 0x0
	v_cmp_eq_u64_e32 vcc_lo, v[4:5], v[6:7]
	v_mov_b64_e32 v[6:7], v[4:5]
	s_or_b32 s10, vcc_lo, s10
	s_delay_alu instid0(SALU_CYCLE_1)
	s_and_not1_b32 exec_lo, exec_lo, s10
	s_cbranch_execnz .LBB3_243
.LBB3_244:
	s_or_b32 exec_lo, exec_lo, s12
	s_get_pc_i64 s[10:11]
	s_add_nc_u64 s[10:11], s[10:11], .str.1@rel64+4
	s_delay_alu instid0(SALU_CYCLE_1)
	s_cmp_lg_u64 s[10:11], 0
	s_cbranch_scc0 .LBB3_323
; %bb.245:
	v_mov_b64_e32 v[10:11], 0x100000002
	s_wait_loadcnt 0x0
	v_dual_mov_b32 v9, 0 :: v_dual_bitop2_b32 v30, 2, v2 bitop3:0x40
	v_dual_mov_b32 v5, v3 :: v_dual_bitop2_b32 v4, -3, v2 bitop3:0x40
	s_mov_b64 s[12:13], 48
	s_branch .LBB3_247
.LBB3_246:                              ;   in Loop: Header=BB3_247 Depth=1
	s_or_b32 exec_lo, exec_lo, s18
	s_sub_nc_u64 s[12:13], s[12:13], s[14:15]
	s_add_nc_u64 s[10:11], s[10:11], s[14:15]
	s_cmp_lg_u64 s[12:13], 0
	s_cbranch_scc0 .LBB3_322
.LBB3_247:                              ; =>This Loop Header: Depth=1
                                        ;     Child Loop BB3_250 Depth 2
                                        ;     Child Loop BB3_257 Depth 2
	;; [unrolled: 1-line block ×11, first 2 shown]
	v_min_u64 v[6:7], s[12:13], 56
	v_cmp_gt_u64_e64 s2, s[12:13], 7
	s_and_b32 vcc_lo, exec_lo, s2
	v_readfirstlane_b32 s14, v6
	v_readfirstlane_b32 s15, v7
	s_cbranch_vccnz .LBB3_252
; %bb.248:                              ;   in Loop: Header=BB3_247 Depth=1
	v_mov_b64_e32 v[6:7], 0
	s_cmp_eq_u64 s[12:13], 0
	s_cbranch_scc1 .LBB3_251
; %bb.249:                              ;   in Loop: Header=BB3_247 Depth=1
	s_mov_b64 s[2:3], 0
	s_mov_b64 s[16:17], 0
.LBB3_250:                              ;   Parent Loop BB3_247 Depth=1
                                        ; =>  This Inner Loop Header: Depth=2
	s_wait_xcnt 0x0
	s_add_nc_u64 s[18:19], s[10:11], s[16:17]
	s_add_nc_u64 s[16:17], s[16:17], 1
	global_load_u8 v1, v9, s[18:19]
	s_cmp_lg_u32 s14, s16
	s_wait_loadcnt 0x0
	v_and_b32_e32 v8, 0xffff, v1
	s_delay_alu instid0(VALU_DEP_1) | instskip(SKIP_1) | instid1(VALU_DEP_1)
	v_lshlrev_b64_e32 v[12:13], s2, v[8:9]
	s_add_nc_u64 s[2:3], s[2:3], 8
	v_or_b32_e32 v6, v12, v6
	s_delay_alu instid0(VALU_DEP_2)
	v_or_b32_e32 v7, v13, v7
	s_cbranch_scc1 .LBB3_250
.LBB3_251:                              ;   in Loop: Header=BB3_247 Depth=1
	s_mov_b64 s[16:17], s[10:11]
	s_mov_b32 s20, 0
	s_cbranch_execz .LBB3_253
	s_branch .LBB3_254
.LBB3_252:                              ;   in Loop: Header=BB3_247 Depth=1
	s_add_nc_u64 s[16:17], s[10:11], 8
	s_mov_b32 s20, 0
.LBB3_253:                              ;   in Loop: Header=BB3_247 Depth=1
	global_load_b64 v[6:7], v9, s[10:11]
	s_add_co_i32 s20, s14, -8
.LBB3_254:                              ;   in Loop: Header=BB3_247 Depth=1
	s_delay_alu instid0(SALU_CYCLE_1)
	s_cmp_gt_u32 s20, 7
	s_cbranch_scc1 .LBB3_259
; %bb.255:                              ;   in Loop: Header=BB3_247 Depth=1
	v_mov_b64_e32 v[12:13], 0
	s_cmp_eq_u32 s20, 0
	s_cbranch_scc1 .LBB3_258
; %bb.256:                              ;   in Loop: Header=BB3_247 Depth=1
	s_mov_b64 s[2:3], 0
	s_wait_xcnt 0x0
	s_mov_b64 s[18:19], 0
.LBB3_257:                              ;   Parent Loop BB3_247 Depth=1
                                        ; =>  This Inner Loop Header: Depth=2
	s_wait_xcnt 0x0
	s_add_nc_u64 s[24:25], s[16:17], s[18:19]
	s_add_nc_u64 s[18:19], s[18:19], 1
	global_load_u8 v1, v9, s[24:25]
	s_cmp_lg_u32 s20, s18
	s_wait_loadcnt 0x0
	v_and_b32_e32 v8, 0xffff, v1
	s_delay_alu instid0(VALU_DEP_1) | instskip(SKIP_1) | instid1(VALU_DEP_1)
	v_lshlrev_b64_e32 v[14:15], s2, v[8:9]
	s_add_nc_u64 s[2:3], s[2:3], 8
	v_or_b32_e32 v12, v14, v12
	s_delay_alu instid0(VALU_DEP_2)
	v_or_b32_e32 v13, v15, v13
	s_cbranch_scc1 .LBB3_257
.LBB3_258:                              ;   in Loop: Header=BB3_247 Depth=1
	s_wait_xcnt 0x0
	s_mov_b64 s[2:3], s[16:17]
	s_mov_b32 s21, 0
	s_cbranch_execz .LBB3_260
	s_branch .LBB3_261
.LBB3_259:                              ;   in Loop: Header=BB3_247 Depth=1
	s_add_nc_u64 s[2:3], s[16:17], 8
	s_wait_xcnt 0x0
                                        ; implicit-def: $vgpr12_vgpr13
	s_mov_b32 s21, 0
.LBB3_260:                              ;   in Loop: Header=BB3_247 Depth=1
	global_load_b64 v[12:13], v9, s[16:17]
	s_add_co_i32 s21, s20, -8
.LBB3_261:                              ;   in Loop: Header=BB3_247 Depth=1
	s_delay_alu instid0(SALU_CYCLE_1)
	s_cmp_gt_u32 s21, 7
	s_cbranch_scc1 .LBB3_266
; %bb.262:                              ;   in Loop: Header=BB3_247 Depth=1
	v_mov_b64_e32 v[14:15], 0
	s_cmp_eq_u32 s21, 0
	s_cbranch_scc1 .LBB3_265
; %bb.263:                              ;   in Loop: Header=BB3_247 Depth=1
	s_wait_xcnt 0x0
	s_mov_b64 s[16:17], 0
	s_mov_b64 s[18:19], 0
.LBB3_264:                              ;   Parent Loop BB3_247 Depth=1
                                        ; =>  This Inner Loop Header: Depth=2
	s_wait_xcnt 0x0
	s_add_nc_u64 s[24:25], s[2:3], s[18:19]
	s_add_nc_u64 s[18:19], s[18:19], 1
	global_load_u8 v1, v9, s[24:25]
	s_cmp_lg_u32 s21, s18
	s_wait_loadcnt 0x0
	v_and_b32_e32 v8, 0xffff, v1
	s_delay_alu instid0(VALU_DEP_1) | instskip(SKIP_1) | instid1(VALU_DEP_1)
	v_lshlrev_b64_e32 v[16:17], s16, v[8:9]
	s_add_nc_u64 s[16:17], s[16:17], 8
	v_or_b32_e32 v14, v16, v14
	s_delay_alu instid0(VALU_DEP_2)
	v_or_b32_e32 v15, v17, v15
	s_cbranch_scc1 .LBB3_264
.LBB3_265:                              ;   in Loop: Header=BB3_247 Depth=1
	s_wait_xcnt 0x0
	s_mov_b64 s[16:17], s[2:3]
	s_mov_b32 s20, 0
	s_cbranch_execz .LBB3_267
	s_branch .LBB3_268
.LBB3_266:                              ;   in Loop: Header=BB3_247 Depth=1
	s_wait_xcnt 0x0
	s_add_nc_u64 s[16:17], s[2:3], 8
	s_mov_b32 s20, 0
.LBB3_267:                              ;   in Loop: Header=BB3_247 Depth=1
	global_load_b64 v[14:15], v9, s[2:3]
	s_add_co_i32 s20, s21, -8
.LBB3_268:                              ;   in Loop: Header=BB3_247 Depth=1
	s_delay_alu instid0(SALU_CYCLE_1)
	s_cmp_gt_u32 s20, 7
	s_cbranch_scc1 .LBB3_273
; %bb.269:                              ;   in Loop: Header=BB3_247 Depth=1
	v_mov_b64_e32 v[16:17], 0
	s_cmp_eq_u32 s20, 0
	s_cbranch_scc1 .LBB3_272
; %bb.270:                              ;   in Loop: Header=BB3_247 Depth=1
	s_wait_xcnt 0x0
	s_mov_b64 s[2:3], 0
	s_mov_b64 s[18:19], 0
.LBB3_271:                              ;   Parent Loop BB3_247 Depth=1
                                        ; =>  This Inner Loop Header: Depth=2
	s_wait_xcnt 0x0
	s_add_nc_u64 s[24:25], s[16:17], s[18:19]
	s_add_nc_u64 s[18:19], s[18:19], 1
	global_load_u8 v1, v9, s[24:25]
	s_cmp_lg_u32 s20, s18
	s_wait_loadcnt 0x0
	v_and_b32_e32 v8, 0xffff, v1
	s_delay_alu instid0(VALU_DEP_1) | instskip(SKIP_1) | instid1(VALU_DEP_1)
	v_lshlrev_b64_e32 v[18:19], s2, v[8:9]
	s_add_nc_u64 s[2:3], s[2:3], 8
	v_or_b32_e32 v16, v18, v16
	s_delay_alu instid0(VALU_DEP_2)
	v_or_b32_e32 v17, v19, v17
	s_cbranch_scc1 .LBB3_271
.LBB3_272:                              ;   in Loop: Header=BB3_247 Depth=1
	s_wait_xcnt 0x0
	s_mov_b64 s[2:3], s[16:17]
	s_mov_b32 s21, 0
	s_cbranch_execz .LBB3_274
	s_branch .LBB3_275
.LBB3_273:                              ;   in Loop: Header=BB3_247 Depth=1
	s_wait_xcnt 0x0
	s_add_nc_u64 s[2:3], s[16:17], 8
                                        ; implicit-def: $vgpr16_vgpr17
	s_mov_b32 s21, 0
.LBB3_274:                              ;   in Loop: Header=BB3_247 Depth=1
	global_load_b64 v[16:17], v9, s[16:17]
	s_add_co_i32 s21, s20, -8
.LBB3_275:                              ;   in Loop: Header=BB3_247 Depth=1
	s_delay_alu instid0(SALU_CYCLE_1)
	s_cmp_gt_u32 s21, 7
	s_cbranch_scc1 .LBB3_280
; %bb.276:                              ;   in Loop: Header=BB3_247 Depth=1
	v_mov_b64_e32 v[18:19], 0
	s_cmp_eq_u32 s21, 0
	s_cbranch_scc1 .LBB3_279
; %bb.277:                              ;   in Loop: Header=BB3_247 Depth=1
	s_wait_xcnt 0x0
	s_mov_b64 s[16:17], 0
	s_mov_b64 s[18:19], 0
.LBB3_278:                              ;   Parent Loop BB3_247 Depth=1
                                        ; =>  This Inner Loop Header: Depth=2
	s_wait_xcnt 0x0
	s_add_nc_u64 s[24:25], s[2:3], s[18:19]
	s_add_nc_u64 s[18:19], s[18:19], 1
	global_load_u8 v1, v9, s[24:25]
	s_cmp_lg_u32 s21, s18
	s_wait_loadcnt 0x0
	v_and_b32_e32 v8, 0xffff, v1
	s_delay_alu instid0(VALU_DEP_1) | instskip(SKIP_1) | instid1(VALU_DEP_1)
	v_lshlrev_b64_e32 v[20:21], s16, v[8:9]
	s_add_nc_u64 s[16:17], s[16:17], 8
	v_or_b32_e32 v18, v20, v18
	s_delay_alu instid0(VALU_DEP_2)
	v_or_b32_e32 v19, v21, v19
	s_cbranch_scc1 .LBB3_278
.LBB3_279:                              ;   in Loop: Header=BB3_247 Depth=1
	s_wait_xcnt 0x0
	s_mov_b64 s[16:17], s[2:3]
	s_mov_b32 s20, 0
	s_cbranch_execz .LBB3_281
	s_branch .LBB3_282
.LBB3_280:                              ;   in Loop: Header=BB3_247 Depth=1
	s_wait_xcnt 0x0
	s_add_nc_u64 s[16:17], s[2:3], 8
	s_mov_b32 s20, 0
.LBB3_281:                              ;   in Loop: Header=BB3_247 Depth=1
	global_load_b64 v[18:19], v9, s[2:3]
	s_add_co_i32 s20, s21, -8
.LBB3_282:                              ;   in Loop: Header=BB3_247 Depth=1
	s_delay_alu instid0(SALU_CYCLE_1)
	s_cmp_gt_u32 s20, 7
	s_cbranch_scc1 .LBB3_287
; %bb.283:                              ;   in Loop: Header=BB3_247 Depth=1
	v_mov_b64_e32 v[20:21], 0
	s_cmp_eq_u32 s20, 0
	s_cbranch_scc1 .LBB3_286
; %bb.284:                              ;   in Loop: Header=BB3_247 Depth=1
	s_wait_xcnt 0x0
	s_mov_b64 s[2:3], 0
	s_mov_b64 s[18:19], 0
.LBB3_285:                              ;   Parent Loop BB3_247 Depth=1
                                        ; =>  This Inner Loop Header: Depth=2
	s_wait_xcnt 0x0
	s_add_nc_u64 s[24:25], s[16:17], s[18:19]
	s_add_nc_u64 s[18:19], s[18:19], 1
	global_load_u8 v1, v9, s[24:25]
	s_cmp_lg_u32 s20, s18
	s_wait_loadcnt 0x0
	v_and_b32_e32 v8, 0xffff, v1
	s_delay_alu instid0(VALU_DEP_1) | instskip(SKIP_1) | instid1(VALU_DEP_1)
	v_lshlrev_b64_e32 v[22:23], s2, v[8:9]
	s_add_nc_u64 s[2:3], s[2:3], 8
	v_or_b32_e32 v20, v22, v20
	s_delay_alu instid0(VALU_DEP_2)
	v_or_b32_e32 v21, v23, v21
	s_cbranch_scc1 .LBB3_285
.LBB3_286:                              ;   in Loop: Header=BB3_247 Depth=1
	s_wait_xcnt 0x0
	s_mov_b64 s[2:3], s[16:17]
	s_mov_b32 s21, 0
	s_cbranch_execz .LBB3_288
	s_branch .LBB3_289
.LBB3_287:                              ;   in Loop: Header=BB3_247 Depth=1
	s_wait_xcnt 0x0
	s_add_nc_u64 s[2:3], s[16:17], 8
                                        ; implicit-def: $vgpr20_vgpr21
	s_mov_b32 s21, 0
.LBB3_288:                              ;   in Loop: Header=BB3_247 Depth=1
	global_load_b64 v[20:21], v9, s[16:17]
	s_add_co_i32 s21, s20, -8
.LBB3_289:                              ;   in Loop: Header=BB3_247 Depth=1
	s_delay_alu instid0(SALU_CYCLE_1)
	s_cmp_gt_u32 s21, 7
	s_cbranch_scc1 .LBB3_294
; %bb.290:                              ;   in Loop: Header=BB3_247 Depth=1
	v_mov_b64_e32 v[22:23], 0
	s_cmp_eq_u32 s21, 0
	s_cbranch_scc1 .LBB3_293
; %bb.291:                              ;   in Loop: Header=BB3_247 Depth=1
	s_wait_xcnt 0x0
	s_mov_b64 s[16:17], 0
	s_mov_b64 s[18:19], s[2:3]
.LBB3_292:                              ;   Parent Loop BB3_247 Depth=1
                                        ; =>  This Inner Loop Header: Depth=2
	global_load_u8 v1, v9, s[18:19]
	s_add_co_i32 s21, s21, -1
	s_wait_xcnt 0x0
	s_add_nc_u64 s[18:19], s[18:19], 1
	s_cmp_lg_u32 s21, 0
	s_wait_loadcnt 0x0
	v_and_b32_e32 v8, 0xffff, v1
	s_delay_alu instid0(VALU_DEP_1) | instskip(SKIP_1) | instid1(VALU_DEP_1)
	v_lshlrev_b64_e32 v[24:25], s16, v[8:9]
	s_add_nc_u64 s[16:17], s[16:17], 8
	v_or_b32_e32 v22, v24, v22
	s_delay_alu instid0(VALU_DEP_2)
	v_or_b32_e32 v23, v25, v23
	s_cbranch_scc1 .LBB3_292
.LBB3_293:                              ;   in Loop: Header=BB3_247 Depth=1
	s_wait_xcnt 0x0
	s_cbranch_execz .LBB3_295
	s_branch .LBB3_296
.LBB3_294:                              ;   in Loop: Header=BB3_247 Depth=1
	s_wait_xcnt 0x0
.LBB3_295:                              ;   in Loop: Header=BB3_247 Depth=1
	global_load_b64 v[22:23], v9, s[2:3]
.LBB3_296:                              ;   in Loop: Header=BB3_247 Depth=1
	s_wait_xcnt 0x0
	v_readfirstlane_b32 s2, v29
	v_mov_b64_e32 v[32:33], 0
	s_delay_alu instid0(VALU_DEP_2)
	v_cmp_eq_u32_e64 s2, s2, v29
	s_and_saveexec_b32 s3, s2
	s_cbranch_execz .LBB3_302
; %bb.297:                              ;   in Loop: Header=BB3_247 Depth=1
	global_load_b64 v[26:27], v9, s[8:9] offset:24 scope:SCOPE_SYS
	s_wait_loadcnt 0x0
	global_inv scope:SCOPE_SYS
	s_clause 0x1
	global_load_b64 v[24:25], v9, s[8:9] offset:40
	global_load_b64 v[32:33], v9, s[8:9]
	s_mov_b32 s16, exec_lo
	s_wait_loadcnt 0x1
	v_and_b32_e32 v24, v24, v26
	v_and_b32_e32 v25, v25, v27
	s_delay_alu instid0(VALU_DEP_1) | instskip(SKIP_1) | instid1(VALU_DEP_1)
	v_mul_u64_e32 v[24:25], 24, v[24:25]
	s_wait_loadcnt 0x0
	v_add_nc_u64_e32 v[24:25], v[32:33], v[24:25]
	global_load_b64 v[24:25], v[24:25], off scope:SCOPE_SYS
	s_wait_xcnt 0x0
	s_wait_loadcnt 0x0
	global_atomic_cmpswap_b64 v[32:33], v9, v[24:27], s[8:9] offset:24 th:TH_ATOMIC_RETURN scope:SCOPE_SYS
	s_wait_loadcnt 0x0
	global_inv scope:SCOPE_SYS
	s_wait_xcnt 0x0
	v_cmpx_ne_u64_e64 v[32:33], v[26:27]
	s_cbranch_execz .LBB3_301
; %bb.298:                              ;   in Loop: Header=BB3_247 Depth=1
	s_mov_b32 s17, 0
.LBB3_299:                              ;   Parent Loop BB3_247 Depth=1
                                        ; =>  This Inner Loop Header: Depth=2
	s_sleep 1
	s_clause 0x1
	global_load_b64 v[24:25], v9, s[8:9] offset:40
	global_load_b64 v[34:35], v9, s[8:9]
	v_mov_b64_e32 v[26:27], v[32:33]
	s_wait_loadcnt 0x1
	s_delay_alu instid0(VALU_DEP_1) | instskip(SKIP_1) | instid1(VALU_DEP_1)
	v_and_b32_e32 v1, v24, v26
	s_wait_loadcnt 0x0
	v_mad_nc_u64_u32 v[32:33], v1, 24, v[34:35]
	s_delay_alu instid0(VALU_DEP_3) | instskip(NEXT) | instid1(VALU_DEP_1)
	v_and_b32_e32 v1, v25, v27
	v_mad_u32 v33, v1, 24, v33
	global_load_b64 v[24:25], v[32:33], off scope:SCOPE_SYS
	s_wait_xcnt 0x0
	s_wait_loadcnt 0x0
	global_atomic_cmpswap_b64 v[32:33], v9, v[24:27], s[8:9] offset:24 th:TH_ATOMIC_RETURN scope:SCOPE_SYS
	s_wait_loadcnt 0x0
	global_inv scope:SCOPE_SYS
	v_cmp_eq_u64_e32 vcc_lo, v[32:33], v[26:27]
	s_or_b32 s17, vcc_lo, s17
	s_wait_xcnt 0x0
	s_and_not1_b32 exec_lo, exec_lo, s17
	s_cbranch_execnz .LBB3_299
; %bb.300:                              ;   in Loop: Header=BB3_247 Depth=1
	s_or_b32 exec_lo, exec_lo, s17
.LBB3_301:                              ;   in Loop: Header=BB3_247 Depth=1
	s_delay_alu instid0(SALU_CYCLE_1)
	s_or_b32 exec_lo, exec_lo, s16
.LBB3_302:                              ;   in Loop: Header=BB3_247 Depth=1
	s_delay_alu instid0(SALU_CYCLE_1)
	s_or_b32 exec_lo, exec_lo, s3
	s_clause 0x1
	global_load_b64 v[34:35], v9, s[8:9] offset:40
	global_load_b128 v[24:27], v9, s[8:9]
	v_readfirstlane_b32 s16, v32
	v_readfirstlane_b32 s17, v33
	s_mov_b32 s3, exec_lo
	s_wait_loadcnt 0x1
	v_and_b32_e32 v34, s16, v34
	v_and_b32_e32 v35, s17, v35
	s_delay_alu instid0(VALU_DEP_1) | instskip(SKIP_1) | instid1(VALU_DEP_1)
	v_mul_u64_e32 v[32:33], 24, v[34:35]
	s_wait_loadcnt 0x0
	v_add_nc_u64_e32 v[32:33], v[24:25], v[32:33]
	s_wait_xcnt 0x0
	s_and_saveexec_b32 s18, s2
	s_cbranch_execz .LBB3_304
; %bb.303:                              ;   in Loop: Header=BB3_247 Depth=1
	v_mov_b32_e32 v8, s3
	global_store_b128 v[32:33], v[8:11], off offset:8
.LBB3_304:                              ;   in Loop: Header=BB3_247 Depth=1
	s_wait_xcnt 0x0
	s_or_b32 exec_lo, exec_lo, s18
	v_cmp_lt_u64_e64 vcc_lo, s[12:13], 57
	v_lshlrev_b64_e32 v[34:35], 12, v[34:35]
	v_and_b32_e32 v4, 0xffffff1f, v4
	s_lshl_b32 s3, s14, 2
	s_delay_alu instid0(SALU_CYCLE_1) | instskip(SKIP_1) | instid1(VALU_DEP_3)
	s_add_co_i32 s3, s3, 28
	v_cndmask_b32_e32 v1, 0, v30, vcc_lo
	v_add_nc_u64_e32 v[26:27], v[26:27], v[34:35]
	s_delay_alu instid0(VALU_DEP_2) | instskip(NEXT) | instid1(VALU_DEP_2)
	v_or_b32_e32 v1, v4, v1
	v_readfirstlane_b32 s18, v26
	s_delay_alu instid0(VALU_DEP_3) | instskip(NEXT) | instid1(VALU_DEP_3)
	v_readfirstlane_b32 s19, v27
	v_and_or_b32 v4, 0x1e0, s3, v1
	s_clause 0x3
	global_store_b128 v0, v[4:7], s[18:19]
	global_store_b128 v0, v[12:15], s[18:19] offset:16
	global_store_b128 v0, v[16:19], s[18:19] offset:32
	;; [unrolled: 1-line block ×3, first 2 shown]
	s_wait_xcnt 0x0
	s_and_saveexec_b32 s3, s2
	s_cbranch_execz .LBB3_312
; %bb.305:                              ;   in Loop: Header=BB3_247 Depth=1
	s_clause 0x1
	global_load_b64 v[16:17], v9, s[8:9] offset:32 scope:SCOPE_SYS
	global_load_b64 v[4:5], v9, s[8:9] offset:40
	s_mov_b32 s18, exec_lo
	v_dual_mov_b32 v14, s16 :: v_dual_mov_b32 v15, s17
	s_wait_loadcnt 0x0
	v_and_b32_e32 v5, s17, v5
	v_and_b32_e32 v4, s16, v4
	s_delay_alu instid0(VALU_DEP_1) | instskip(NEXT) | instid1(VALU_DEP_1)
	v_mul_u64_e32 v[4:5], 24, v[4:5]
	v_add_nc_u64_e32 v[12:13], v[24:25], v[4:5]
	global_store_b64 v[12:13], v[16:17], off
	global_wb scope:SCOPE_SYS
	s_wait_storecnt 0x0
	s_wait_xcnt 0x0
	global_atomic_cmpswap_b64 v[6:7], v9, v[14:17], s[8:9] offset:32 th:TH_ATOMIC_RETURN scope:SCOPE_SYS
	s_wait_loadcnt 0x0
	v_cmpx_ne_u64_e64 v[6:7], v[16:17]
	s_cbranch_execz .LBB3_308
; %bb.306:                              ;   in Loop: Header=BB3_247 Depth=1
	s_mov_b32 s19, 0
.LBB3_307:                              ;   Parent Loop BB3_247 Depth=1
                                        ; =>  This Inner Loop Header: Depth=2
	v_dual_mov_b32 v4, s16 :: v_dual_mov_b32 v5, s17
	s_sleep 1
	global_store_b64 v[12:13], v[6:7], off
	global_wb scope:SCOPE_SYS
	s_wait_storecnt 0x0
	s_wait_xcnt 0x0
	global_atomic_cmpswap_b64 v[4:5], v9, v[4:7], s[8:9] offset:32 th:TH_ATOMIC_RETURN scope:SCOPE_SYS
	s_wait_loadcnt 0x0
	v_cmp_eq_u64_e32 vcc_lo, v[4:5], v[6:7]
	v_mov_b64_e32 v[6:7], v[4:5]
	s_or_b32 s19, vcc_lo, s19
	s_delay_alu instid0(SALU_CYCLE_1)
	s_and_not1_b32 exec_lo, exec_lo, s19
	s_cbranch_execnz .LBB3_307
.LBB3_308:                              ;   in Loop: Header=BB3_247 Depth=1
	s_or_b32 exec_lo, exec_lo, s18
	global_load_b64 v[4:5], v9, s[8:9] offset:16
	s_mov_b32 s19, exec_lo
	s_mov_b32 s18, exec_lo
	v_mbcnt_lo_u32_b32 v1, s19, 0
	s_wait_xcnt 0x0
	s_delay_alu instid0(VALU_DEP_1)
	v_cmpx_eq_u32_e32 0, v1
	s_cbranch_execz .LBB3_310
; %bb.309:                              ;   in Loop: Header=BB3_247 Depth=1
	s_bcnt1_i32_b32 s19, s19
	s_delay_alu instid0(SALU_CYCLE_1)
	v_mov_b32_e32 v8, s19
	global_wb scope:SCOPE_SYS
	s_wait_loadcnt 0x0
	s_wait_storecnt 0x0
	global_atomic_add_u64 v[4:5], v[8:9], off offset:8 scope:SCOPE_SYS
.LBB3_310:                              ;   in Loop: Header=BB3_247 Depth=1
	s_wait_xcnt 0x0
	s_or_b32 exec_lo, exec_lo, s18
	s_wait_loadcnt 0x0
	global_load_b64 v[6:7], v[4:5], off offset:16
	s_wait_loadcnt 0x0
	v_cmp_eq_u64_e32 vcc_lo, 0, v[6:7]
	s_cbranch_vccnz .LBB3_312
; %bb.311:                              ;   in Loop: Header=BB3_247 Depth=1
	global_load_b32 v8, v[4:5], off offset:24
	s_wait_loadcnt 0x0
	v_readfirstlane_b32 s18, v8
	global_wb scope:SCOPE_SYS
	s_wait_storecnt 0x0
	s_wait_xcnt 0x0
	global_store_b64 v[6:7], v[8:9], off scope:SCOPE_SYS
	s_and_b32 m0, s18, 0xffffff
	s_sendmsg sendmsg(MSG_INTERRUPT)
.LBB3_312:                              ;   in Loop: Header=BB3_247 Depth=1
	s_wait_xcnt 0x0
	s_or_b32 exec_lo, exec_lo, s3
	v_mov_b32_e32 v1, v9
	s_delay_alu instid0(VALU_DEP_1)
	v_add_nc_u64_e32 v[4:5], v[26:27], v[0:1]
	s_branch .LBB3_316
.LBB3_313:                              ;   in Loop: Header=BB3_316 Depth=2
	s_wait_xcnt 0x0
	s_or_b32 exec_lo, exec_lo, s3
	s_delay_alu instid0(VALU_DEP_1)
	v_readfirstlane_b32 s3, v1
	s_cmp_eq_u32 s3, 0
	s_cbranch_scc1 .LBB3_315
; %bb.314:                              ;   in Loop: Header=BB3_316 Depth=2
	s_sleep 1
	s_cbranch_execnz .LBB3_316
	s_branch .LBB3_318
.LBB3_315:                              ;   in Loop: Header=BB3_247 Depth=1
	s_branch .LBB3_318
.LBB3_316:                              ;   Parent Loop BB3_247 Depth=1
                                        ; =>  This Inner Loop Header: Depth=2
	v_mov_b32_e32 v1, 1
	s_and_saveexec_b32 s3, s2
	s_cbranch_execz .LBB3_313
; %bb.317:                              ;   in Loop: Header=BB3_316 Depth=2
	global_load_b32 v1, v[32:33], off offset:20 scope:SCOPE_SYS
	s_wait_loadcnt 0x0
	global_inv scope:SCOPE_SYS
	v_and_b32_e32 v1, 1, v1
	s_branch .LBB3_313
.LBB3_318:                              ;   in Loop: Header=BB3_247 Depth=1
	global_load_b64 v[4:5], v[4:5], off
	s_wait_xcnt 0x0
	s_and_saveexec_b32 s18, s2
	s_cbranch_execz .LBB3_246
; %bb.319:                              ;   in Loop: Header=BB3_247 Depth=1
	s_clause 0x2
	global_load_b64 v[6:7], v9, s[8:9] offset:40
	global_load_b64 v[16:17], v9, s[8:9] offset:24 scope:SCOPE_SYS
	global_load_b64 v[12:13], v9, s[8:9]
	s_wait_loadcnt 0x2
	v_readfirstlane_b32 s20, v6
	v_readfirstlane_b32 s21, v7
	s_add_nc_u64 s[2:3], s[20:21], 1
	s_delay_alu instid0(SALU_CYCLE_1) | instskip(NEXT) | instid1(SALU_CYCLE_1)
	s_add_nc_u64 s[16:17], s[2:3], s[16:17]
	s_cmp_eq_u64 s[16:17], 0
	s_cselect_b32 s3, s3, s17
	s_cselect_b32 s2, s2, s16
	s_delay_alu instid0(SALU_CYCLE_1) | instskip(SKIP_1) | instid1(SALU_CYCLE_1)
	v_dual_mov_b32 v15, s3 :: v_dual_mov_b32 v14, s2
	s_and_b64 s[16:17], s[2:3], s[20:21]
	s_mul_u64 s[16:17], s[16:17], 24
	s_wait_loadcnt 0x0
	v_add_nc_u64_e32 v[6:7], s[16:17], v[12:13]
	global_store_b64 v[6:7], v[16:17], off
	global_wb scope:SCOPE_SYS
	s_wait_storecnt 0x0
	s_wait_xcnt 0x0
	global_atomic_cmpswap_b64 v[14:15], v9, v[14:17], s[8:9] offset:24 th:TH_ATOMIC_RETURN scope:SCOPE_SYS
	s_wait_loadcnt 0x0
	v_cmp_ne_u64_e32 vcc_lo, v[14:15], v[16:17]
	s_and_b32 exec_lo, exec_lo, vcc_lo
	s_cbranch_execz .LBB3_246
; %bb.320:                              ;   in Loop: Header=BB3_247 Depth=1
	s_mov_b32 s16, 0
.LBB3_321:                              ;   Parent Loop BB3_247 Depth=1
                                        ; =>  This Inner Loop Header: Depth=2
	v_dual_mov_b32 v12, s2 :: v_dual_mov_b32 v13, s3
	s_sleep 1
	global_store_b64 v[6:7], v[14:15], off
	global_wb scope:SCOPE_SYS
	s_wait_storecnt 0x0
	s_wait_xcnt 0x0
	global_atomic_cmpswap_b64 v[12:13], v9, v[12:15], s[8:9] offset:24 th:TH_ATOMIC_RETURN scope:SCOPE_SYS
	s_wait_loadcnt 0x0
	v_cmp_eq_u64_e32 vcc_lo, v[12:13], v[14:15]
	v_mov_b64_e32 v[14:15], v[12:13]
	s_or_b32 s16, vcc_lo, s16
	s_delay_alu instid0(SALU_CYCLE_1)
	s_and_not1_b32 exec_lo, exec_lo, s16
	s_cbranch_execnz .LBB3_321
	s_branch .LBB3_246
.LBB3_322:
	s_branch .LBB3_351
.LBB3_323:
                                        ; implicit-def: $vgpr4_vgpr5
	s_cbranch_execz .LBB3_351
; %bb.324:
	v_readfirstlane_b32 s2, v29
	s_wait_loadcnt 0x0
	v_mov_b64_e32 v[4:5], 0
	s_delay_alu instid0(VALU_DEP_2)
	v_cmp_eq_u32_e64 s2, s2, v29
	s_and_saveexec_b32 s3, s2
	s_cbranch_execz .LBB3_330
; %bb.325:
	v_mov_b32_e32 v1, 0
	s_mov_b32 s10, exec_lo
	global_load_b64 v[6:7], v1, s[8:9] offset:24 scope:SCOPE_SYS
	s_wait_loadcnt 0x0
	global_inv scope:SCOPE_SYS
	s_clause 0x1
	global_load_b64 v[4:5], v1, s[8:9] offset:40
	global_load_b64 v[8:9], v1, s[8:9]
	s_wait_loadcnt 0x1
	v_and_b32_e32 v4, v4, v6
	v_and_b32_e32 v5, v5, v7
	s_delay_alu instid0(VALU_DEP_1) | instskip(SKIP_1) | instid1(VALU_DEP_1)
	v_mul_u64_e32 v[4:5], 24, v[4:5]
	s_wait_loadcnt 0x0
	v_add_nc_u64_e32 v[4:5], v[8:9], v[4:5]
	global_load_b64 v[4:5], v[4:5], off scope:SCOPE_SYS
	s_wait_xcnt 0x0
	s_wait_loadcnt 0x0
	global_atomic_cmpswap_b64 v[4:5], v1, v[4:7], s[8:9] offset:24 th:TH_ATOMIC_RETURN scope:SCOPE_SYS
	s_wait_loadcnt 0x0
	global_inv scope:SCOPE_SYS
	s_wait_xcnt 0x0
	v_cmpx_ne_u64_e64 v[4:5], v[6:7]
	s_cbranch_execz .LBB3_329
; %bb.326:
	s_mov_b32 s11, 0
.LBB3_327:                              ; =>This Inner Loop Header: Depth=1
	s_sleep 1
	s_clause 0x1
	global_load_b64 v[8:9], v1, s[8:9] offset:40
	global_load_b64 v[10:11], v1, s[8:9]
	v_mov_b64_e32 v[6:7], v[4:5]
	s_wait_loadcnt 0x1
	s_delay_alu instid0(VALU_DEP_1) | instskip(NEXT) | instid1(VALU_DEP_2)
	v_and_b32_e32 v4, v8, v6
	v_and_b32_e32 v8, v9, v7
	s_wait_loadcnt 0x0
	s_delay_alu instid0(VALU_DEP_2) | instskip(NEXT) | instid1(VALU_DEP_1)
	v_mad_nc_u64_u32 v[4:5], v4, 24, v[10:11]
	v_mad_u32 v5, v8, 24, v5
	global_load_b64 v[4:5], v[4:5], off scope:SCOPE_SYS
	s_wait_xcnt 0x0
	s_wait_loadcnt 0x0
	global_atomic_cmpswap_b64 v[4:5], v1, v[4:7], s[8:9] offset:24 th:TH_ATOMIC_RETURN scope:SCOPE_SYS
	s_wait_loadcnt 0x0
	global_inv scope:SCOPE_SYS
	v_cmp_eq_u64_e32 vcc_lo, v[4:5], v[6:7]
	s_or_b32 s11, vcc_lo, s11
	s_wait_xcnt 0x0
	s_and_not1_b32 exec_lo, exec_lo, s11
	s_cbranch_execnz .LBB3_327
; %bb.328:
	s_or_b32 exec_lo, exec_lo, s11
.LBB3_329:
	s_delay_alu instid0(SALU_CYCLE_1)
	s_or_b32 exec_lo, exec_lo, s10
.LBB3_330:
	s_delay_alu instid0(SALU_CYCLE_1)
	s_or_b32 exec_lo, exec_lo, s3
	v_readfirstlane_b32 s10, v4
	v_mov_b32_e32 v1, 0
	v_readfirstlane_b32 s11, v5
	s_mov_b32 s3, exec_lo
	s_clause 0x1
	global_load_b64 v[10:11], v1, s[8:9] offset:40
	global_load_b128 v[6:9], v1, s[8:9]
	s_wait_loadcnt 0x1
	v_and_b32_e32 v4, s10, v10
	v_and_b32_e32 v5, s11, v11
	s_delay_alu instid0(VALU_DEP_1) | instskip(SKIP_1) | instid1(VALU_DEP_1)
	v_mul_u64_e32 v[10:11], 24, v[4:5]
	s_wait_loadcnt 0x0
	v_add_nc_u64_e32 v[10:11], v[6:7], v[10:11]
	s_wait_xcnt 0x0
	s_and_saveexec_b32 s12, s2
	s_cbranch_execz .LBB3_332
; %bb.331:
	v_mov_b64_e32 v[14:15], 0x100000002
	v_dual_mov_b32 v12, s3 :: v_dual_mov_b32 v13, v1
	global_store_b128 v[10:11], v[12:15], off offset:8
.LBB3_332:
	s_wait_xcnt 0x0
	s_or_b32 exec_lo, exec_lo, s12
	v_lshlrev_b64_e32 v[4:5], 12, v[4:5]
	s_mov_b32 s12, 0
	v_and_or_b32 v2, 0xffffff1f, v2, 32
	s_mov_b32 s13, s12
	s_mov_b32 s14, s12
	;; [unrolled: 1-line block ×3, first 2 shown]
	v_mov_b64_e32 v[12:13], s[12:13]
	v_add_nc_u64_e32 v[8:9], v[8:9], v[4:5]
	v_mov_b64_e32 v[14:15], s[14:15]
	v_dual_mov_b32 v4, v1 :: v_dual_mov_b32 v5, v1
	s_delay_alu instid0(VALU_DEP_3) | instskip(NEXT) | instid1(VALU_DEP_4)
	v_readfirstlane_b32 s16, v8
	v_readfirstlane_b32 s17, v9
	s_clause 0x3
	global_store_b128 v0, v[2:5], s[16:17]
	global_store_b128 v0, v[12:15], s[16:17] offset:16
	global_store_b128 v0, v[12:15], s[16:17] offset:32
	;; [unrolled: 1-line block ×3, first 2 shown]
	s_wait_xcnt 0x0
	s_and_saveexec_b32 s3, s2
	s_cbranch_execz .LBB3_340
; %bb.333:
	v_dual_mov_b32 v12, 0 :: v_dual_mov_b32 v15, s11
	s_mov_b32 s12, exec_lo
	s_clause 0x1
	global_load_b64 v[16:17], v12, s[8:9] offset:32 scope:SCOPE_SYS
	global_load_b64 v[2:3], v12, s[8:9] offset:40
	s_wait_loadcnt 0x0
	v_dual_mov_b32 v14, s10 :: v_dual_bitop2_b32 v3, s11, v3 bitop3:0x40
	v_and_b32_e32 v2, s10, v2
	s_delay_alu instid0(VALU_DEP_1) | instskip(NEXT) | instid1(VALU_DEP_1)
	v_mul_u64_e32 v[2:3], 24, v[2:3]
	v_add_nc_u64_e32 v[6:7], v[6:7], v[2:3]
	global_store_b64 v[6:7], v[16:17], off
	global_wb scope:SCOPE_SYS
	s_wait_storecnt 0x0
	s_wait_xcnt 0x0
	global_atomic_cmpswap_b64 v[4:5], v12, v[14:17], s[8:9] offset:32 th:TH_ATOMIC_RETURN scope:SCOPE_SYS
	s_wait_loadcnt 0x0
	v_cmpx_ne_u64_e64 v[4:5], v[16:17]
	s_cbranch_execz .LBB3_336
; %bb.334:
	s_mov_b32 s13, 0
.LBB3_335:                              ; =>This Inner Loop Header: Depth=1
	v_dual_mov_b32 v2, s10 :: v_dual_mov_b32 v3, s11
	s_sleep 1
	global_store_b64 v[6:7], v[4:5], off
	global_wb scope:SCOPE_SYS
	s_wait_storecnt 0x0
	s_wait_xcnt 0x0
	global_atomic_cmpswap_b64 v[2:3], v12, v[2:5], s[8:9] offset:32 th:TH_ATOMIC_RETURN scope:SCOPE_SYS
	s_wait_loadcnt 0x0
	v_cmp_eq_u64_e32 vcc_lo, v[2:3], v[4:5]
	v_mov_b64_e32 v[4:5], v[2:3]
	s_or_b32 s13, vcc_lo, s13
	s_delay_alu instid0(SALU_CYCLE_1)
	s_and_not1_b32 exec_lo, exec_lo, s13
	s_cbranch_execnz .LBB3_335
.LBB3_336:
	s_or_b32 exec_lo, exec_lo, s12
	v_mov_b32_e32 v5, 0
	s_mov_b32 s13, exec_lo
	s_mov_b32 s12, exec_lo
	v_mbcnt_lo_u32_b32 v4, s13, 0
	global_load_b64 v[2:3], v5, s[8:9] offset:16
	s_wait_xcnt 0x0
	v_cmpx_eq_u32_e32 0, v4
	s_cbranch_execz .LBB3_338
; %bb.337:
	s_bcnt1_i32_b32 s13, s13
	s_delay_alu instid0(SALU_CYCLE_1)
	v_mov_b32_e32 v4, s13
	global_wb scope:SCOPE_SYS
	s_wait_loadcnt 0x0
	s_wait_storecnt 0x0
	global_atomic_add_u64 v[2:3], v[4:5], off offset:8 scope:SCOPE_SYS
.LBB3_338:
	s_wait_xcnt 0x0
	s_or_b32 exec_lo, exec_lo, s12
	s_wait_loadcnt 0x0
	global_load_b64 v[4:5], v[2:3], off offset:16
	s_wait_loadcnt 0x0
	v_cmp_eq_u64_e32 vcc_lo, 0, v[4:5]
	s_cbranch_vccnz .LBB3_340
; %bb.339:
	global_load_b32 v2, v[2:3], off offset:24
	s_wait_xcnt 0x0
	v_mov_b32_e32 v3, 0
	s_wait_loadcnt 0x0
	v_readfirstlane_b32 s12, v2
	global_wb scope:SCOPE_SYS
	s_wait_storecnt 0x0
	global_store_b64 v[4:5], v[2:3], off scope:SCOPE_SYS
	s_and_b32 m0, s12, 0xffffff
	s_sendmsg sendmsg(MSG_INTERRUPT)
.LBB3_340:
	s_wait_xcnt 0x0
	s_or_b32 exec_lo, exec_lo, s3
	v_add_nc_u64_e32 v[2:3], v[8:9], v[0:1]
	s_branch .LBB3_344
.LBB3_341:                              ;   in Loop: Header=BB3_344 Depth=1
	s_wait_xcnt 0x0
	s_or_b32 exec_lo, exec_lo, s3
	s_delay_alu instid0(VALU_DEP_1)
	v_readfirstlane_b32 s3, v1
	s_cmp_eq_u32 s3, 0
	s_cbranch_scc1 .LBB3_343
; %bb.342:                              ;   in Loop: Header=BB3_344 Depth=1
	s_sleep 1
	s_cbranch_execnz .LBB3_344
	s_branch .LBB3_346
.LBB3_343:
	s_branch .LBB3_346
.LBB3_344:                              ; =>This Inner Loop Header: Depth=1
	v_mov_b32_e32 v1, 1
	s_and_saveexec_b32 s3, s2
	s_cbranch_execz .LBB3_341
; %bb.345:                              ;   in Loop: Header=BB3_344 Depth=1
	global_load_b32 v1, v[10:11], off offset:20 scope:SCOPE_SYS
	s_wait_loadcnt 0x0
	global_inv scope:SCOPE_SYS
	v_and_b32_e32 v1, 1, v1
	s_branch .LBB3_341
.LBB3_346:
	global_load_b64 v[4:5], v[2:3], off
	s_wait_xcnt 0x0
	s_and_saveexec_b32 s12, s2
	s_cbranch_execz .LBB3_350
; %bb.347:
	v_mov_b32_e32 v1, 0
	s_clause 0x2
	global_load_b64 v[2:3], v1, s[8:9] offset:40
	global_load_b64 v[10:11], v1, s[8:9] offset:24 scope:SCOPE_SYS
	global_load_b64 v[6:7], v1, s[8:9]
	s_wait_loadcnt 0x2
	v_readfirstlane_b32 s14, v2
	v_readfirstlane_b32 s15, v3
	s_add_nc_u64 s[2:3], s[14:15], 1
	s_delay_alu instid0(SALU_CYCLE_1) | instskip(NEXT) | instid1(SALU_CYCLE_1)
	s_add_nc_u64 s[10:11], s[2:3], s[10:11]
	s_cmp_eq_u64 s[10:11], 0
	s_cselect_b32 s3, s3, s11
	s_cselect_b32 s2, s2, s10
	v_mov_b32_e32 v9, s3
	s_and_b64 s[10:11], s[2:3], s[14:15]
	v_mov_b32_e32 v8, s2
	s_mul_u64 s[10:11], s[10:11], 24
	s_wait_loadcnt 0x0
	v_add_nc_u64_e32 v[2:3], s[10:11], v[6:7]
	global_store_b64 v[2:3], v[10:11], off
	global_wb scope:SCOPE_SYS
	s_wait_storecnt 0x0
	s_wait_xcnt 0x0
	global_atomic_cmpswap_b64 v[8:9], v1, v[8:11], s[8:9] offset:24 th:TH_ATOMIC_RETURN scope:SCOPE_SYS
	s_wait_loadcnt 0x0
	v_cmp_ne_u64_e32 vcc_lo, v[8:9], v[10:11]
	s_and_b32 exec_lo, exec_lo, vcc_lo
	s_cbranch_execz .LBB3_350
; %bb.348:
	s_mov_b32 s10, 0
.LBB3_349:                              ; =>This Inner Loop Header: Depth=1
	v_dual_mov_b32 v6, s2 :: v_dual_mov_b32 v7, s3
	s_sleep 1
	global_store_b64 v[2:3], v[8:9], off
	global_wb scope:SCOPE_SYS
	s_wait_storecnt 0x0
	s_wait_xcnt 0x0
	global_atomic_cmpswap_b64 v[6:7], v1, v[6:9], s[8:9] offset:24 th:TH_ATOMIC_RETURN scope:SCOPE_SYS
	s_wait_loadcnt 0x0
	v_cmp_eq_u64_e32 vcc_lo, v[6:7], v[8:9]
	v_mov_b64_e32 v[8:9], v[6:7]
	s_or_b32 s10, vcc_lo, s10
	s_delay_alu instid0(SALU_CYCLE_1)
	s_and_not1_b32 exec_lo, exec_lo, s10
	s_cbranch_execnz .LBB3_349
.LBB3_350:
	s_or_b32 exec_lo, exec_lo, s12
.LBB3_351:
	v_readfirstlane_b32 s2, v29
	s_wait_loadcnt 0x0
	v_mov_b64_e32 v[2:3], 0
	s_delay_alu instid0(VALU_DEP_2)
	v_cmp_eq_u32_e64 s2, s2, v29
	s_and_saveexec_b32 s3, s2
	s_cbranch_execz .LBB3_357
; %bb.352:
	v_mov_b32_e32 v1, 0
	s_mov_b32 s10, exec_lo
	global_load_b64 v[8:9], v1, s[8:9] offset:24 scope:SCOPE_SYS
	s_wait_loadcnt 0x0
	global_inv scope:SCOPE_SYS
	s_clause 0x1
	global_load_b64 v[2:3], v1, s[8:9] offset:40
	global_load_b64 v[6:7], v1, s[8:9]
	s_wait_loadcnt 0x1
	v_and_b32_e32 v2, v2, v8
	v_and_b32_e32 v3, v3, v9
	s_delay_alu instid0(VALU_DEP_1) | instskip(SKIP_1) | instid1(VALU_DEP_1)
	v_mul_u64_e32 v[2:3], 24, v[2:3]
	s_wait_loadcnt 0x0
	v_add_nc_u64_e32 v[2:3], v[6:7], v[2:3]
	global_load_b64 v[6:7], v[2:3], off scope:SCOPE_SYS
	s_wait_xcnt 0x0
	s_wait_loadcnt 0x0
	global_atomic_cmpswap_b64 v[2:3], v1, v[6:9], s[8:9] offset:24 th:TH_ATOMIC_RETURN scope:SCOPE_SYS
	s_wait_loadcnt 0x0
	global_inv scope:SCOPE_SYS
	s_wait_xcnt 0x0
	v_cmpx_ne_u64_e64 v[2:3], v[8:9]
	s_cbranch_execz .LBB3_356
; %bb.353:
	s_mov_b32 s11, 0
.LBB3_354:                              ; =>This Inner Loop Header: Depth=1
	s_sleep 1
	s_clause 0x1
	global_load_b64 v[6:7], v1, s[8:9] offset:40
	global_load_b64 v[10:11], v1, s[8:9]
	v_mov_b64_e32 v[8:9], v[2:3]
	s_wait_loadcnt 0x1
	s_delay_alu instid0(VALU_DEP_1) | instskip(NEXT) | instid1(VALU_DEP_2)
	v_and_b32_e32 v2, v6, v8
	v_and_b32_e32 v6, v7, v9
	s_wait_loadcnt 0x0
	s_delay_alu instid0(VALU_DEP_2) | instskip(NEXT) | instid1(VALU_DEP_1)
	v_mad_nc_u64_u32 v[2:3], v2, 24, v[10:11]
	v_mad_u32 v3, v6, 24, v3
	global_load_b64 v[6:7], v[2:3], off scope:SCOPE_SYS
	s_wait_xcnt 0x0
	s_wait_loadcnt 0x0
	global_atomic_cmpswap_b64 v[2:3], v1, v[6:9], s[8:9] offset:24 th:TH_ATOMIC_RETURN scope:SCOPE_SYS
	s_wait_loadcnt 0x0
	global_inv scope:SCOPE_SYS
	v_cmp_eq_u64_e32 vcc_lo, v[2:3], v[8:9]
	s_or_b32 s11, vcc_lo, s11
	s_wait_xcnt 0x0
	s_and_not1_b32 exec_lo, exec_lo, s11
	s_cbranch_execnz .LBB3_354
; %bb.355:
	s_or_b32 exec_lo, exec_lo, s11
.LBB3_356:
	s_delay_alu instid0(SALU_CYCLE_1)
	s_or_b32 exec_lo, exec_lo, s10
.LBB3_357:
	s_delay_alu instid0(SALU_CYCLE_1)
	s_or_b32 exec_lo, exec_lo, s3
	v_readfirstlane_b32 s10, v2
	v_mov_b32_e32 v1, 0
	v_readfirstlane_b32 s11, v3
	s_mov_b32 s3, exec_lo
	s_clause 0x1
	global_load_b64 v[6:7], v1, s[8:9] offset:40
	global_load_b128 v[8:11], v1, s[8:9]
	s_wait_loadcnt 0x1
	v_and_b32_e32 v2, s10, v6
	v_and_b32_e32 v3, s11, v7
	s_delay_alu instid0(VALU_DEP_1) | instskip(SKIP_1) | instid1(VALU_DEP_1)
	v_mul_u64_e32 v[6:7], 24, v[2:3]
	s_wait_loadcnt 0x0
	v_add_nc_u64_e32 v[12:13], v[8:9], v[6:7]
	s_wait_xcnt 0x0
	s_and_saveexec_b32 s12, s2
	s_cbranch_execz .LBB3_359
; %bb.358:
	v_mov_b64_e32 v[16:17], 0x100000002
	v_dual_mov_b32 v14, s3 :: v_dual_mov_b32 v15, v1
	global_store_b128 v[12:13], v[14:17], off offset:8
.LBB3_359:
	s_wait_xcnt 0x0
	s_or_b32 exec_lo, exec_lo, s12
	v_lshlrev_b64_e32 v[2:3], 12, v[2:3]
	s_mov_b32 s12, 0
	s_lshr_b32 s3, s22, 2
	s_mov_b32 s14, s12
	s_mov_b32 s15, s12
	;; [unrolled: 1-line block ×3, first 2 shown]
	v_mov_b64_e32 v[16:17], s[14:15]
	v_add_nc_u64_e32 v[10:11], v[10:11], v[2:3]
	v_mov_b64_e32 v[14:15], s[12:13]
	v_and_or_b32 v4, 0xffffff1f, v4, 32
	v_dual_mov_b32 v7, v1 :: v_dual_mov_b32 v6, s3
	s_delay_alu instid0(VALU_DEP_4)
	v_readfirstlane_b32 s16, v10
	v_readfirstlane_b32 s17, v11
	s_clause 0x3
	global_store_b128 v0, v[4:7], s[16:17]
	global_store_b128 v0, v[14:17], s[16:17] offset:16
	global_store_b128 v0, v[14:17], s[16:17] offset:32
	global_store_b128 v0, v[14:17], s[16:17] offset:48
	s_wait_xcnt 0x0
	s_and_saveexec_b32 s3, s2
	s_cbranch_execz .LBB3_367
; %bb.360:
	v_dual_mov_b32 v14, 0 :: v_dual_mov_b32 v17, s11
	s_mov_b32 s12, exec_lo
	s_clause 0x1
	global_load_b64 v[18:19], v14, s[8:9] offset:32 scope:SCOPE_SYS
	global_load_b64 v[2:3], v14, s[8:9] offset:40
	s_wait_loadcnt 0x0
	v_dual_mov_b32 v16, s10 :: v_dual_bitop2_b32 v3, s11, v3 bitop3:0x40
	v_and_b32_e32 v2, s10, v2
	s_delay_alu instid0(VALU_DEP_1) | instskip(NEXT) | instid1(VALU_DEP_1)
	v_mul_u64_e32 v[2:3], 24, v[2:3]
	v_add_nc_u64_e32 v[6:7], v[8:9], v[2:3]
	global_store_b64 v[6:7], v[18:19], off
	global_wb scope:SCOPE_SYS
	s_wait_storecnt 0x0
	s_wait_xcnt 0x0
	global_atomic_cmpswap_b64 v[4:5], v14, v[16:19], s[8:9] offset:32 th:TH_ATOMIC_RETURN scope:SCOPE_SYS
	s_wait_loadcnt 0x0
	v_cmpx_ne_u64_e64 v[4:5], v[18:19]
	s_cbranch_execz .LBB3_363
; %bb.361:
	s_mov_b32 s13, 0
.LBB3_362:                              ; =>This Inner Loop Header: Depth=1
	v_dual_mov_b32 v2, s10 :: v_dual_mov_b32 v3, s11
	s_sleep 1
	global_store_b64 v[6:7], v[4:5], off
	global_wb scope:SCOPE_SYS
	s_wait_storecnt 0x0
	s_wait_xcnt 0x0
	global_atomic_cmpswap_b64 v[2:3], v14, v[2:5], s[8:9] offset:32 th:TH_ATOMIC_RETURN scope:SCOPE_SYS
	s_wait_loadcnt 0x0
	v_cmp_eq_u64_e32 vcc_lo, v[2:3], v[4:5]
	v_mov_b64_e32 v[4:5], v[2:3]
	s_or_b32 s13, vcc_lo, s13
	s_delay_alu instid0(SALU_CYCLE_1)
	s_and_not1_b32 exec_lo, exec_lo, s13
	s_cbranch_execnz .LBB3_362
.LBB3_363:
	s_or_b32 exec_lo, exec_lo, s12
	v_mov_b32_e32 v5, 0
	s_mov_b32 s13, exec_lo
	s_mov_b32 s12, exec_lo
	v_mbcnt_lo_u32_b32 v4, s13, 0
	global_load_b64 v[2:3], v5, s[8:9] offset:16
	s_wait_xcnt 0x0
	v_cmpx_eq_u32_e32 0, v4
	s_cbranch_execz .LBB3_365
; %bb.364:
	s_bcnt1_i32_b32 s13, s13
	s_delay_alu instid0(SALU_CYCLE_1)
	v_mov_b32_e32 v4, s13
	global_wb scope:SCOPE_SYS
	s_wait_loadcnt 0x0
	s_wait_storecnt 0x0
	global_atomic_add_u64 v[2:3], v[4:5], off offset:8 scope:SCOPE_SYS
.LBB3_365:
	s_wait_xcnt 0x0
	s_or_b32 exec_lo, exec_lo, s12
	s_wait_loadcnt 0x0
	global_load_b64 v[4:5], v[2:3], off offset:16
	s_wait_loadcnt 0x0
	v_cmp_eq_u64_e32 vcc_lo, 0, v[4:5]
	s_cbranch_vccnz .LBB3_367
; %bb.366:
	global_load_b32 v2, v[2:3], off offset:24
	s_wait_xcnt 0x0
	v_mov_b32_e32 v3, 0
	s_wait_loadcnt 0x0
	v_readfirstlane_b32 s12, v2
	global_wb scope:SCOPE_SYS
	s_wait_storecnt 0x0
	global_store_b64 v[4:5], v[2:3], off scope:SCOPE_SYS
	s_and_b32 m0, s12, 0xffffff
	s_sendmsg sendmsg(MSG_INTERRUPT)
.LBB3_367:
	s_wait_xcnt 0x0
	s_or_b32 exec_lo, exec_lo, s3
	v_add_nc_u64_e32 v[2:3], v[10:11], v[0:1]
	s_branch .LBB3_371
.LBB3_368:                              ;   in Loop: Header=BB3_371 Depth=1
	s_wait_xcnt 0x0
	s_or_b32 exec_lo, exec_lo, s3
	s_delay_alu instid0(VALU_DEP_1)
	v_readfirstlane_b32 s3, v1
	s_cmp_eq_u32 s3, 0
	s_cbranch_scc1 .LBB3_370
; %bb.369:                              ;   in Loop: Header=BB3_371 Depth=1
	s_sleep 1
	s_cbranch_execnz .LBB3_371
	s_branch .LBB3_373
.LBB3_370:
	s_branch .LBB3_373
.LBB3_371:                              ; =>This Inner Loop Header: Depth=1
	v_mov_b32_e32 v1, 1
	s_and_saveexec_b32 s3, s2
	s_cbranch_execz .LBB3_368
; %bb.372:                              ;   in Loop: Header=BB3_371 Depth=1
	global_load_b32 v1, v[12:13], off offset:20 scope:SCOPE_SYS
	s_wait_loadcnt 0x0
	global_inv scope:SCOPE_SYS
	v_and_b32_e32 v1, 1, v1
	s_branch .LBB3_368
.LBB3_373:
	global_load_b64 v[2:3], v[2:3], off
	s_wait_xcnt 0x0
	s_and_saveexec_b32 s12, s2
	s_cbranch_execz .LBB3_377
; %bb.374:
	v_mov_b32_e32 v1, 0
	s_clause 0x2
	global_load_b64 v[4:5], v1, s[8:9] offset:40
	global_load_b64 v[12:13], v1, s[8:9] offset:24 scope:SCOPE_SYS
	global_load_b64 v[6:7], v1, s[8:9]
	s_wait_loadcnt 0x2
	v_readfirstlane_b32 s14, v4
	v_readfirstlane_b32 s15, v5
	s_add_nc_u64 s[2:3], s[14:15], 1
	s_delay_alu instid0(SALU_CYCLE_1) | instskip(NEXT) | instid1(SALU_CYCLE_1)
	s_add_nc_u64 s[10:11], s[2:3], s[10:11]
	s_cmp_eq_u64 s[10:11], 0
	s_cselect_b32 s3, s3, s11
	s_cselect_b32 s2, s2, s10
	v_mov_b32_e32 v11, s3
	s_and_b64 s[10:11], s[2:3], s[14:15]
	v_mov_b32_e32 v10, s2
	s_mul_u64 s[10:11], s[10:11], 24
	s_wait_loadcnt 0x0
	v_add_nc_u64_e32 v[8:9], s[10:11], v[6:7]
	global_store_b64 v[8:9], v[12:13], off
	global_wb scope:SCOPE_SYS
	s_wait_storecnt 0x0
	s_wait_xcnt 0x0
	global_atomic_cmpswap_b64 v[6:7], v1, v[10:13], s[8:9] offset:24 th:TH_ATOMIC_RETURN scope:SCOPE_SYS
	s_wait_loadcnt 0x0
	v_cmp_ne_u64_e32 vcc_lo, v[6:7], v[12:13]
	s_and_b32 exec_lo, exec_lo, vcc_lo
	s_cbranch_execz .LBB3_377
; %bb.375:
	s_mov_b32 s10, 0
.LBB3_376:                              ; =>This Inner Loop Header: Depth=1
	v_dual_mov_b32 v4, s2 :: v_dual_mov_b32 v5, s3
	s_sleep 1
	global_store_b64 v[8:9], v[6:7], off
	global_wb scope:SCOPE_SYS
	s_wait_storecnt 0x0
	s_wait_xcnt 0x0
	global_atomic_cmpswap_b64 v[4:5], v1, v[4:7], s[8:9] offset:24 th:TH_ATOMIC_RETURN scope:SCOPE_SYS
	s_wait_loadcnt 0x0
	v_cmp_eq_u64_e32 vcc_lo, v[4:5], v[6:7]
	v_mov_b64_e32 v[6:7], v[4:5]
	s_or_b32 s10, vcc_lo, s10
	s_delay_alu instid0(SALU_CYCLE_1)
	s_and_not1_b32 exec_lo, exec_lo, s10
	s_cbranch_execnz .LBB3_376
.LBB3_377:
	s_or_b32 exec_lo, exec_lo, s12
	v_readfirstlane_b32 s2, v29
	v_mov_b64_e32 v[10:11], 0
	s_delay_alu instid0(VALU_DEP_2)
	v_cmp_eq_u32_e64 s2, s2, v29
	s_and_saveexec_b32 s3, s2
	s_cbranch_execz .LBB3_383
; %bb.378:
	v_mov_b32_e32 v1, 0
	s_mov_b32 s10, exec_lo
	global_load_b64 v[6:7], v1, s[8:9] offset:24 scope:SCOPE_SYS
	s_wait_loadcnt 0x0
	global_inv scope:SCOPE_SYS
	s_clause 0x1
	global_load_b64 v[4:5], v1, s[8:9] offset:40
	global_load_b64 v[8:9], v1, s[8:9]
	s_wait_loadcnt 0x1
	v_and_b32_e32 v4, v4, v6
	v_and_b32_e32 v5, v5, v7
	s_delay_alu instid0(VALU_DEP_1) | instskip(SKIP_1) | instid1(VALU_DEP_1)
	v_mul_u64_e32 v[4:5], 24, v[4:5]
	s_wait_loadcnt 0x0
	v_add_nc_u64_e32 v[4:5], v[8:9], v[4:5]
	global_load_b64 v[4:5], v[4:5], off scope:SCOPE_SYS
	s_wait_xcnt 0x0
	s_wait_loadcnt 0x0
	global_atomic_cmpswap_b64 v[10:11], v1, v[4:7], s[8:9] offset:24 th:TH_ATOMIC_RETURN scope:SCOPE_SYS
	s_wait_loadcnt 0x0
	global_inv scope:SCOPE_SYS
	s_wait_xcnt 0x0
	v_cmpx_ne_u64_e64 v[10:11], v[6:7]
	s_cbranch_execz .LBB3_382
; %bb.379:
	s_mov_b32 s11, 0
.LBB3_380:                              ; =>This Inner Loop Header: Depth=1
	s_sleep 1
	s_clause 0x1
	global_load_b64 v[4:5], v1, s[8:9] offset:40
	global_load_b64 v[8:9], v1, s[8:9]
	v_mov_b64_e32 v[6:7], v[10:11]
	s_wait_loadcnt 0x1
	s_delay_alu instid0(VALU_DEP_1) | instskip(SKIP_1) | instid1(VALU_DEP_1)
	v_and_b32_e32 v4, v4, v6
	s_wait_loadcnt 0x0
	v_mad_nc_u64_u32 v[8:9], v4, 24, v[8:9]
	s_delay_alu instid0(VALU_DEP_3) | instskip(NEXT) | instid1(VALU_DEP_1)
	v_and_b32_e32 v4, v5, v7
	v_mad_u32 v9, v4, 24, v9
	global_load_b64 v[4:5], v[8:9], off scope:SCOPE_SYS
	s_wait_xcnt 0x0
	s_wait_loadcnt 0x0
	global_atomic_cmpswap_b64 v[10:11], v1, v[4:7], s[8:9] offset:24 th:TH_ATOMIC_RETURN scope:SCOPE_SYS
	s_wait_loadcnt 0x0
	global_inv scope:SCOPE_SYS
	v_cmp_eq_u64_e32 vcc_lo, v[10:11], v[6:7]
	s_or_b32 s11, vcc_lo, s11
	s_wait_xcnt 0x0
	s_and_not1_b32 exec_lo, exec_lo, s11
	s_cbranch_execnz .LBB3_380
; %bb.381:
	s_or_b32 exec_lo, exec_lo, s11
.LBB3_382:
	s_delay_alu instid0(SALU_CYCLE_1)
	s_or_b32 exec_lo, exec_lo, s10
.LBB3_383:
	s_delay_alu instid0(SALU_CYCLE_1)
	s_or_b32 exec_lo, exec_lo, s3
	v_readfirstlane_b32 s10, v10
	v_mov_b32_e32 v5, 0
	v_readfirstlane_b32 s11, v11
	s_mov_b32 s3, exec_lo
	s_clause 0x1
	global_load_b64 v[12:13], v5, s[8:9] offset:40
	global_load_b128 v[6:9], v5, s[8:9]
	s_wait_loadcnt 0x1
	v_and_b32_e32 v12, s10, v12
	v_and_b32_e32 v13, s11, v13
	s_delay_alu instid0(VALU_DEP_1) | instskip(SKIP_1) | instid1(VALU_DEP_1)
	v_mul_u64_e32 v[10:11], 24, v[12:13]
	s_wait_loadcnt 0x0
	v_add_nc_u64_e32 v[10:11], v[6:7], v[10:11]
	s_wait_xcnt 0x0
	s_and_saveexec_b32 s12, s2
	s_cbranch_execz .LBB3_385
; %bb.384:
	v_mov_b32_e32 v4, s3
	v_mov_b64_e32 v[16:17], 0x100000002
	s_delay_alu instid0(VALU_DEP_2)
	v_mov_b64_e32 v[14:15], v[4:5]
	global_store_b128 v[10:11], v[14:17], off offset:8
.LBB3_385:
	s_wait_xcnt 0x0
	s_or_b32 exec_lo, exec_lo, s12
	v_lshlrev_b64_e32 v[12:13], 12, v[12:13]
	s_mov_b32 s12, 0
	v_and_or_b32 v2, 0xffffff1d, v2, 34
	s_mov_b32 s13, s12
	s_mov_b32 s14, s12
	;; [unrolled: 1-line block ×3, first 2 shown]
	v_mov_b32_e32 v4, 4
	v_add_nc_u64_e32 v[8:9], v[8:9], v[12:13]
	v_mov_b64_e32 v[12:13], s[12:13]
	v_mov_b64_e32 v[14:15], s[14:15]
	s_delay_alu instid0(VALU_DEP_3) | instskip(NEXT) | instid1(VALU_DEP_4)
	v_readfirstlane_b32 s16, v8
	v_readfirstlane_b32 s17, v9
	s_clause 0x3
	global_store_b128 v0, v[2:5], s[16:17]
	global_store_b128 v0, v[12:15], s[16:17] offset:16
	global_store_b128 v0, v[12:15], s[16:17] offset:32
	;; [unrolled: 1-line block ×3, first 2 shown]
	s_wait_xcnt 0x0
	s_and_saveexec_b32 s3, s2
	s_cbranch_execz .LBB3_393
; %bb.386:
	v_dual_mov_b32 v8, 0 :: v_dual_mov_b32 v13, s11
	s_mov_b32 s12, exec_lo
	s_clause 0x1
	global_load_b64 v[14:15], v8, s[8:9] offset:32 scope:SCOPE_SYS
	global_load_b64 v[0:1], v8, s[8:9] offset:40
	s_wait_loadcnt 0x0
	v_dual_mov_b32 v12, s10 :: v_dual_bitop2_b32 v1, s11, v1 bitop3:0x40
	v_and_b32_e32 v0, s10, v0
	s_delay_alu instid0(VALU_DEP_1) | instskip(NEXT) | instid1(VALU_DEP_1)
	v_mul_u64_e32 v[0:1], 24, v[0:1]
	v_add_nc_u64_e32 v[4:5], v[6:7], v[0:1]
	global_store_b64 v[4:5], v[14:15], off
	global_wb scope:SCOPE_SYS
	s_wait_storecnt 0x0
	s_wait_xcnt 0x0
	global_atomic_cmpswap_b64 v[2:3], v8, v[12:15], s[8:9] offset:32 th:TH_ATOMIC_RETURN scope:SCOPE_SYS
	s_wait_loadcnt 0x0
	v_cmpx_ne_u64_e64 v[2:3], v[14:15]
	s_cbranch_execz .LBB3_389
; %bb.387:
	s_mov_b32 s13, 0
.LBB3_388:                              ; =>This Inner Loop Header: Depth=1
	v_dual_mov_b32 v0, s10 :: v_dual_mov_b32 v1, s11
	s_sleep 1
	global_store_b64 v[4:5], v[2:3], off
	global_wb scope:SCOPE_SYS
	s_wait_storecnt 0x0
	s_wait_xcnt 0x0
	global_atomic_cmpswap_b64 v[0:1], v8, v[0:3], s[8:9] offset:32 th:TH_ATOMIC_RETURN scope:SCOPE_SYS
	s_wait_loadcnt 0x0
	v_cmp_eq_u64_e32 vcc_lo, v[0:1], v[2:3]
	v_mov_b64_e32 v[2:3], v[0:1]
	s_or_b32 s13, vcc_lo, s13
	s_delay_alu instid0(SALU_CYCLE_1)
	s_and_not1_b32 exec_lo, exec_lo, s13
	s_cbranch_execnz .LBB3_388
.LBB3_389:
	s_or_b32 exec_lo, exec_lo, s12
	v_mov_b32_e32 v3, 0
	s_mov_b32 s13, exec_lo
	s_mov_b32 s12, exec_lo
	v_mbcnt_lo_u32_b32 v2, s13, 0
	global_load_b64 v[0:1], v3, s[8:9] offset:16
	s_wait_xcnt 0x0
	v_cmpx_eq_u32_e32 0, v2
	s_cbranch_execz .LBB3_391
; %bb.390:
	s_bcnt1_i32_b32 s13, s13
	s_delay_alu instid0(SALU_CYCLE_1)
	v_mov_b32_e32 v2, s13
	global_wb scope:SCOPE_SYS
	s_wait_loadcnt 0x0
	s_wait_storecnt 0x0
	global_atomic_add_u64 v[0:1], v[2:3], off offset:8 scope:SCOPE_SYS
.LBB3_391:
	s_wait_xcnt 0x0
	s_or_b32 exec_lo, exec_lo, s12
	s_wait_loadcnt 0x0
	global_load_b64 v[2:3], v[0:1], off offset:16
	s_wait_loadcnt 0x0
	v_cmp_eq_u64_e32 vcc_lo, 0, v[2:3]
	s_cbranch_vccnz .LBB3_393
; %bb.392:
	global_load_b32 v0, v[0:1], off offset:24
	s_wait_xcnt 0x0
	v_mov_b32_e32 v1, 0
	s_wait_loadcnt 0x0
	v_readfirstlane_b32 s12, v0
	global_wb scope:SCOPE_SYS
	s_wait_storecnt 0x0
	global_store_b64 v[2:3], v[0:1], off scope:SCOPE_SYS
	s_and_b32 m0, s12, 0xffffff
	s_sendmsg sendmsg(MSG_INTERRUPT)
.LBB3_393:
	s_wait_xcnt 0x0
	s_or_b32 exec_lo, exec_lo, s3
	s_branch .LBB3_397
.LBB3_394:                              ;   in Loop: Header=BB3_397 Depth=1
	s_wait_xcnt 0x0
	s_or_b32 exec_lo, exec_lo, s3
	s_delay_alu instid0(VALU_DEP_1)
	v_readfirstlane_b32 s3, v0
	s_cmp_eq_u32 s3, 0
	s_cbranch_scc1 .LBB3_396
; %bb.395:                              ;   in Loop: Header=BB3_397 Depth=1
	s_sleep 1
	s_cbranch_execnz .LBB3_397
	s_branch .LBB3_399
.LBB3_396:
	s_branch .LBB3_399
.LBB3_397:                              ; =>This Inner Loop Header: Depth=1
	v_mov_b32_e32 v0, 1
	s_and_saveexec_b32 s3, s2
	s_cbranch_execz .LBB3_394
; %bb.398:                              ;   in Loop: Header=BB3_397 Depth=1
	global_load_b32 v0, v[10:11], off offset:20 scope:SCOPE_SYS
	s_wait_loadcnt 0x0
	global_inv scope:SCOPE_SYS
	v_and_b32_e32 v0, 1, v0
	s_branch .LBB3_394
.LBB3_399:
	s_and_b32 exec_lo, exec_lo, s2
	s_cbranch_execz .LBB3_403
; %bb.400:
	v_mov_b32_e32 v6, 0
	s_clause 0x2
	global_load_b64 v[0:1], v6, s[8:9] offset:40
	global_load_b64 v[10:11], v6, s[8:9] offset:24 scope:SCOPE_SYS
	global_load_b64 v[2:3], v6, s[8:9]
	s_wait_loadcnt 0x2
	v_readfirstlane_b32 s12, v0
	v_readfirstlane_b32 s13, v1
	s_add_nc_u64 s[2:3], s[12:13], 1
	s_delay_alu instid0(SALU_CYCLE_1) | instskip(NEXT) | instid1(SALU_CYCLE_1)
	s_add_nc_u64 s[10:11], s[2:3], s[10:11]
	s_cmp_eq_u64 s[10:11], 0
	s_cselect_b32 s3, s3, s11
	s_cselect_b32 s2, s2, s10
	v_mov_b32_e32 v9, s3
	s_and_b64 s[10:11], s[2:3], s[12:13]
	v_mov_b32_e32 v8, s2
	s_mul_u64 s[10:11], s[10:11], 24
	s_wait_loadcnt 0x0
	v_add_nc_u64_e32 v[4:5], s[10:11], v[2:3]
	global_store_b64 v[4:5], v[10:11], off
	global_wb scope:SCOPE_SYS
	s_wait_storecnt 0x0
	s_wait_xcnt 0x0
	global_atomic_cmpswap_b64 v[2:3], v6, v[8:11], s[8:9] offset:24 th:TH_ATOMIC_RETURN scope:SCOPE_SYS
	s_wait_loadcnt 0x0
	v_cmp_ne_u64_e32 vcc_lo, v[2:3], v[10:11]
	s_and_b32 exec_lo, exec_lo, vcc_lo
	s_cbranch_execz .LBB3_403
; %bb.401:
	s_mov_b32 s10, 0
.LBB3_402:                              ; =>This Inner Loop Header: Depth=1
	v_dual_mov_b32 v0, s2 :: v_dual_mov_b32 v1, s3
	s_sleep 1
	global_store_b64 v[4:5], v[2:3], off
	global_wb scope:SCOPE_SYS
	s_wait_storecnt 0x0
	s_wait_xcnt 0x0
	global_atomic_cmpswap_b64 v[0:1], v6, v[0:3], s[8:9] offset:24 th:TH_ATOMIC_RETURN scope:SCOPE_SYS
	s_wait_loadcnt 0x0
	v_cmp_eq_u64_e32 vcc_lo, v[0:1], v[2:3]
	v_mov_b64_e32 v[2:3], v[0:1]
	s_or_b32 s10, vcc_lo, s10
	s_delay_alu instid0(SALU_CYCLE_1)
	s_and_not1_b32 exec_lo, exec_lo, s10
	s_cbranch_execnz .LBB3_402
.LBB3_403:
	s_or_b32 exec_lo, exec_lo, s23
	v_dual_mov_b32 v3, 0 :: v_dual_bitop2_b32 v0, -4, v28 bitop3:0x40
	v_dual_mov_b32 v31, v28 :: v_dual_bitop2_b32 v4, 3, v28 bitop3:0x40
	s_mov_b32 s2, exec_lo
	s_delay_alu instid0(VALU_DEP_2)
	v_ashrrev_i32_e32 v1, 31, v0
	s_wait_loadcnt 0x0
	s_wait_storecnt 0x0
	v_lshlrev_b32_e32 v2, 2, v4
	s_barrier_signal -1
	s_barrier_wait -1
	v_lshl_add_u64 v[0:1], v[0:1], 2, s[4:5]
	s_delay_alu instid0(VALU_DEP_1)
	v_add_nc_u64_e32 v[2:3], v[0:1], v[2:3]
	flat_store_b32 v[2:3], v28
	global_wb scope:SCOPE_DEV
	s_wait_storecnt_dscnt 0x0
	global_inv scope:SCOPE_DEV
	s_wait_xcnt 0x0
	v_cmpx_gt_u32_e32 2, v4
	s_cbranch_execz .LBB3_405
; %bb.404:
	flat_load_b32 v5, v[2:3] offset:8
	s_wait_loadcnt_dscnt 0x0
	v_add_nc_u32_e32 v31, v5, v28
.LBB3_405:
	s_or_b32 exec_lo, exec_lo, s2
	v_cmp_eq_u32_e64 s2, 0, v4
	global_wb scope:SCOPE_DEV
	s_wait_loadcnt 0x0
	s_wait_storecnt 0x0
	global_inv scope:SCOPE_DEV
	flat_store_b32 v[2:3], v31
	global_wb scope:SCOPE_DEV
	s_wait_storecnt 0x0
	s_wait_loadcnt_dscnt 0x0
	global_inv scope:SCOPE_DEV
	s_and_saveexec_b32 s3, s2
	s_cbranch_execnz .LBB3_408
; %bb.406:
	s_or_b32 exec_lo, exec_lo, s3
	global_wb scope:SCOPE_DEV
	s_wait_loadcnt 0x0
	s_wait_storecnt 0x0
	global_inv scope:SCOPE_DEV
	s_and_saveexec_b32 s3, s2
	s_cbranch_execnz .LBB3_409
.LBB3_407:
	s_endpgm
.LBB3_408:
	flat_load_b32 v0, v[0:1] offset:4
	s_wait_loadcnt_dscnt 0x0
	v_add_nc_u32_e32 v31, v0, v31
	s_or_b32 exec_lo, exec_lo, s3
	global_wb scope:SCOPE_DEV
	s_wait_storecnt 0x0
	global_inv scope:SCOPE_DEV
	s_and_saveexec_b32 s3, s2
	s_cbranch_execz .LBB3_407
.LBB3_409:
	s_load_b64 s[4:5], s[6:7], 0x50
	v_mbcnt_lo_u32_b32 v29, -1, 0
	v_mov_b64_e32 v[2:3], 0
	s_delay_alu instid0(VALU_DEP_2) | instskip(NEXT) | instid1(VALU_DEP_1)
	v_readfirstlane_b32 s3, v29
	v_cmp_eq_u32_e64 s3, s3, v29
	s_wait_xcnt 0x0
	s_and_saveexec_b32 s6, s3
	s_cbranch_execz .LBB3_415
; %bb.410:
	v_mov_b32_e32 v0, 0
	s_mov_b32 s7, exec_lo
	s_wait_kmcnt 0x0
	global_load_b64 v[4:5], v0, s[4:5] offset:24 scope:SCOPE_SYS
	s_wait_loadcnt 0x0
	global_inv scope:SCOPE_SYS
	s_clause 0x1
	global_load_b64 v[2:3], v0, s[4:5] offset:40
	global_load_b64 v[6:7], v0, s[4:5]
	s_wait_loadcnt 0x1
	v_and_b32_e32 v2, v2, v4
	v_and_b32_e32 v3, v3, v5
	s_delay_alu instid0(VALU_DEP_1) | instskip(SKIP_1) | instid1(VALU_DEP_1)
	v_mul_u64_e32 v[2:3], 24, v[2:3]
	s_wait_loadcnt 0x0
	v_add_nc_u64_e32 v[2:3], v[6:7], v[2:3]
	global_load_b64 v[2:3], v[2:3], off scope:SCOPE_SYS
	s_wait_xcnt 0x0
	s_wait_loadcnt 0x0
	global_atomic_cmpswap_b64 v[2:3], v0, v[2:5], s[4:5] offset:24 th:TH_ATOMIC_RETURN scope:SCOPE_SYS
	s_wait_loadcnt 0x0
	global_inv scope:SCOPE_SYS
	s_wait_xcnt 0x0
	v_cmpx_ne_u64_e64 v[2:3], v[4:5]
	s_cbranch_execz .LBB3_414
; %bb.411:
	s_mov_b32 s8, 0
.LBB3_412:                              ; =>This Inner Loop Header: Depth=1
	s_sleep 1
	s_clause 0x1
	global_load_b64 v[6:7], v0, s[4:5] offset:40
	global_load_b64 v[8:9], v0, s[4:5]
	v_mov_b64_e32 v[4:5], v[2:3]
	s_wait_loadcnt 0x1
	s_delay_alu instid0(VALU_DEP_1) | instskip(SKIP_1) | instid1(VALU_DEP_1)
	v_and_b32_e32 v1, v6, v4
	s_wait_loadcnt 0x0
	v_mad_nc_u64_u32 v[2:3], v1, 24, v[8:9]
	s_delay_alu instid0(VALU_DEP_3) | instskip(NEXT) | instid1(VALU_DEP_1)
	v_and_b32_e32 v1, v7, v5
	v_mad_u32 v3, v1, 24, v3
	global_load_b64 v[2:3], v[2:3], off scope:SCOPE_SYS
	s_wait_xcnt 0x0
	s_wait_loadcnt 0x0
	global_atomic_cmpswap_b64 v[2:3], v0, v[2:5], s[4:5] offset:24 th:TH_ATOMIC_RETURN scope:SCOPE_SYS
	s_wait_loadcnt 0x0
	global_inv scope:SCOPE_SYS
	v_cmp_eq_u64_e32 vcc_lo, v[2:3], v[4:5]
	s_or_b32 s8, vcc_lo, s8
	s_wait_xcnt 0x0
	s_and_not1_b32 exec_lo, exec_lo, s8
	s_cbranch_execnz .LBB3_412
; %bb.413:
	s_or_b32 exec_lo, exec_lo, s8
.LBB3_414:
	s_delay_alu instid0(SALU_CYCLE_1)
	s_or_b32 exec_lo, exec_lo, s7
.LBB3_415:
	s_delay_alu instid0(SALU_CYCLE_1)
	s_or_b32 exec_lo, exec_lo, s6
	v_readfirstlane_b32 s6, v2
	v_mov_b32_e32 v1, 0
	v_readfirstlane_b32 s7, v3
	s_mov_b32 s8, exec_lo
	s_wait_kmcnt 0x0
	s_clause 0x1
	global_load_b64 v[8:9], v1, s[4:5] offset:40
	global_load_b128 v[4:7], v1, s[4:5]
	s_wait_loadcnt 0x1
	v_and_b32_e32 v10, s6, v8
	v_and_b32_e32 v11, s7, v9
	s_delay_alu instid0(VALU_DEP_1) | instskip(SKIP_1) | instid1(VALU_DEP_1)
	v_mul_u64_e32 v[2:3], 24, v[10:11]
	s_wait_loadcnt 0x0
	v_add_nc_u64_e32 v[8:9], v[4:5], v[2:3]
	s_and_saveexec_b32 s9, s3
	s_cbranch_execz .LBB3_417
; %bb.416:
	v_mov_b64_e32 v[2:3], 0x100000002
	v_mov_b32_e32 v0, s8
	global_store_b128 v[8:9], v[0:3], off offset:8
.LBB3_417:
	s_wait_xcnt 0x0
	s_or_b32 exec_lo, exec_lo, s9
	v_lshlrev_b64_e32 v[2:3], 12, v[10:11]
	s_mov_b32 s8, 0
	v_dual_lshlrev_b32 v0, 6, v29 :: v_dual_mov_b32 v10, 33
	s_mov_b32 s10, s8
	s_mov_b32 s11, s8
	;; [unrolled: 1-line block ×3, first 2 shown]
	s_delay_alu instid0(VALU_DEP_2)
	v_add_nc_u64_e32 v[6:7], v[6:7], v[2:3]
	v_mov_b64_e32 v[16:17], s[10:11]
	v_mov_b64_e32 v[14:15], s[8:9]
	v_dual_mov_b32 v11, v1 :: v_dual_mov_b32 v12, v1
	v_mov_b32_e32 v13, v1
	v_readfirstlane_b32 s12, v6
	v_readfirstlane_b32 s13, v7
	s_clause 0x3
	global_store_b128 v0, v[10:13], s[12:13]
	global_store_b128 v0, v[14:17], s[12:13] offset:16
	global_store_b128 v0, v[14:17], s[12:13] offset:32
	;; [unrolled: 1-line block ×3, first 2 shown]
	s_wait_xcnt 0x0
	s_and_saveexec_b32 s8, s3
	s_cbranch_execz .LBB3_425
; %bb.418:
	v_dual_mov_b32 v12, 0 :: v_dual_mov_b32 v15, s7
	s_mov_b32 s9, exec_lo
	s_clause 0x1
	global_load_b64 v[16:17], v12, s[4:5] offset:32 scope:SCOPE_SYS
	global_load_b64 v[2:3], v12, s[4:5] offset:40
	s_wait_loadcnt 0x0
	v_dual_mov_b32 v14, s6 :: v_dual_bitop2_b32 v3, s7, v3 bitop3:0x40
	v_and_b32_e32 v2, s6, v2
	s_delay_alu instid0(VALU_DEP_1) | instskip(NEXT) | instid1(VALU_DEP_1)
	v_mul_u64_e32 v[2:3], 24, v[2:3]
	v_add_nc_u64_e32 v[10:11], v[4:5], v[2:3]
	global_store_b64 v[10:11], v[16:17], off
	global_wb scope:SCOPE_SYS
	s_wait_storecnt 0x0
	s_wait_xcnt 0x0
	global_atomic_cmpswap_b64 v[4:5], v12, v[14:17], s[4:5] offset:32 th:TH_ATOMIC_RETURN scope:SCOPE_SYS
	s_wait_loadcnt 0x0
	v_cmpx_ne_u64_e64 v[4:5], v[16:17]
	s_cbranch_execz .LBB3_421
; %bb.419:
	s_mov_b32 s10, 0
.LBB3_420:                              ; =>This Inner Loop Header: Depth=1
	v_dual_mov_b32 v2, s6 :: v_dual_mov_b32 v3, s7
	s_sleep 1
	global_store_b64 v[10:11], v[4:5], off
	global_wb scope:SCOPE_SYS
	s_wait_storecnt 0x0
	s_wait_xcnt 0x0
	global_atomic_cmpswap_b64 v[2:3], v12, v[2:5], s[4:5] offset:32 th:TH_ATOMIC_RETURN scope:SCOPE_SYS
	s_wait_loadcnt 0x0
	v_cmp_eq_u64_e32 vcc_lo, v[2:3], v[4:5]
	v_mov_b64_e32 v[4:5], v[2:3]
	s_or_b32 s10, vcc_lo, s10
	s_delay_alu instid0(SALU_CYCLE_1)
	s_and_not1_b32 exec_lo, exec_lo, s10
	s_cbranch_execnz .LBB3_420
.LBB3_421:
	s_or_b32 exec_lo, exec_lo, s9
	v_mov_b32_e32 v5, 0
	s_mov_b32 s10, exec_lo
	s_mov_b32 s9, exec_lo
	v_mbcnt_lo_u32_b32 v4, s10, 0
	global_load_b64 v[2:3], v5, s[4:5] offset:16
	s_wait_xcnt 0x0
	v_cmpx_eq_u32_e32 0, v4
	s_cbranch_execz .LBB3_423
; %bb.422:
	s_bcnt1_i32_b32 s10, s10
	s_delay_alu instid0(SALU_CYCLE_1)
	v_mov_b32_e32 v4, s10
	global_wb scope:SCOPE_SYS
	s_wait_loadcnt 0x0
	s_wait_storecnt 0x0
	global_atomic_add_u64 v[2:3], v[4:5], off offset:8 scope:SCOPE_SYS
.LBB3_423:
	s_wait_xcnt 0x0
	s_or_b32 exec_lo, exec_lo, s9
	s_wait_loadcnt 0x0
	global_load_b64 v[4:5], v[2:3], off offset:16
	s_wait_loadcnt 0x0
	v_cmp_eq_u64_e32 vcc_lo, 0, v[4:5]
	s_cbranch_vccnz .LBB3_425
; %bb.424:
	global_load_b32 v2, v[2:3], off offset:24
	s_wait_xcnt 0x0
	v_mov_b32_e32 v3, 0
	s_wait_loadcnt 0x0
	v_readfirstlane_b32 s9, v2
	global_wb scope:SCOPE_SYS
	s_wait_storecnt 0x0
	global_store_b64 v[4:5], v[2:3], off scope:SCOPE_SYS
	s_and_b32 m0, s9, 0xffffff
	s_sendmsg sendmsg(MSG_INTERRUPT)
.LBB3_425:
	s_wait_xcnt 0x0
	s_or_b32 exec_lo, exec_lo, s8
	v_add_nc_u64_e32 v[2:3], v[6:7], v[0:1]
	s_branch .LBB3_429
.LBB3_426:                              ;   in Loop: Header=BB3_429 Depth=1
	s_wait_xcnt 0x0
	s_or_b32 exec_lo, exec_lo, s8
	s_delay_alu instid0(VALU_DEP_1)
	v_readfirstlane_b32 s8, v1
	s_cmp_eq_u32 s8, 0
	s_cbranch_scc1 .LBB3_428
; %bb.427:                              ;   in Loop: Header=BB3_429 Depth=1
	s_sleep 1
	s_cbranch_execnz .LBB3_429
	s_branch .LBB3_431
.LBB3_428:
	s_branch .LBB3_431
.LBB3_429:                              ; =>This Inner Loop Header: Depth=1
	v_mov_b32_e32 v1, 1
	s_and_saveexec_b32 s8, s3
	s_cbranch_execz .LBB3_426
; %bb.430:                              ;   in Loop: Header=BB3_429 Depth=1
	global_load_b32 v1, v[8:9], off offset:20 scope:SCOPE_SYS
	s_wait_loadcnt 0x0
	global_inv scope:SCOPE_SYS
	v_and_b32_e32 v1, 1, v1
	s_branch .LBB3_426
.LBB3_431:
	global_load_b64 v[2:3], v[2:3], off
	s_wait_xcnt 0x0
	s_and_saveexec_b32 s8, s3
	s_cbranch_execz .LBB3_435
; %bb.432:
	v_mov_b32_e32 v1, 0
	s_clause 0x2
	global_load_b64 v[4:5], v1, s[4:5] offset:40
	global_load_b64 v[12:13], v1, s[4:5] offset:24 scope:SCOPE_SYS
	global_load_b64 v[6:7], v1, s[4:5]
	s_wait_loadcnt 0x2
	v_readfirstlane_b32 s10, v4
	v_readfirstlane_b32 s11, v5
	s_add_nc_u64 s[12:13], s[10:11], 1
	s_delay_alu instid0(SALU_CYCLE_1) | instskip(NEXT) | instid1(SALU_CYCLE_1)
	s_add_nc_u64 s[6:7], s[12:13], s[6:7]
	s_cmp_eq_u64 s[6:7], 0
	s_cselect_b32 s7, s13, s7
	s_cselect_b32 s6, s12, s6
	v_mov_b32_e32 v11, s7
	s_and_b64 s[10:11], s[6:7], s[10:11]
	v_mov_b32_e32 v10, s6
	s_mul_u64 s[10:11], s[10:11], 24
	s_wait_loadcnt 0x0
	v_add_nc_u64_e32 v[8:9], s[10:11], v[6:7]
	global_store_b64 v[8:9], v[12:13], off
	global_wb scope:SCOPE_SYS
	s_wait_storecnt 0x0
	s_wait_xcnt 0x0
	global_atomic_cmpswap_b64 v[6:7], v1, v[10:13], s[4:5] offset:24 th:TH_ATOMIC_RETURN scope:SCOPE_SYS
	s_wait_loadcnt 0x0
	v_cmp_ne_u64_e32 vcc_lo, v[6:7], v[12:13]
	s_and_b32 exec_lo, exec_lo, vcc_lo
	s_cbranch_execz .LBB3_435
; %bb.433:
	s_mov_b32 s3, 0
.LBB3_434:                              ; =>This Inner Loop Header: Depth=1
	v_dual_mov_b32 v4, s6 :: v_dual_mov_b32 v5, s7
	s_sleep 1
	global_store_b64 v[8:9], v[6:7], off
	global_wb scope:SCOPE_SYS
	s_wait_storecnt 0x0
	s_wait_xcnt 0x0
	global_atomic_cmpswap_b64 v[4:5], v1, v[4:7], s[4:5] offset:24 th:TH_ATOMIC_RETURN scope:SCOPE_SYS
	s_wait_loadcnt 0x0
	v_cmp_eq_u64_e32 vcc_lo, v[4:5], v[6:7]
	v_mov_b64_e32 v[6:7], v[4:5]
	s_or_b32 s3, vcc_lo, s3
	s_delay_alu instid0(SALU_CYCLE_1)
	s_and_not1_b32 exec_lo, exec_lo, s3
	s_cbranch_execnz .LBB3_434
.LBB3_435:
	s_or_b32 exec_lo, exec_lo, s8
	s_get_pc_i64 s[6:7]
	s_add_nc_u64 s[6:7], s[6:7], .str.9@rel64+4
	s_mov_b64 s[8:9], 0
	s_cmp_lg_u64 s[6:7], 0
	s_cselect_b32 s3, -1, 0
	s_cmp_eq_u64 s[6:7], 0
	s_cbranch_scc1 .LBB3_439
; %bb.436:
	s_get_pc_i64 s[8:9]
	s_add_nc_u64 s[8:9], s[8:9], .str.9@rel64+3
.LBB3_437:                              ; =>This Inner Loop Header: Depth=1
	s_load_u8 s10, s[8:9], 0x1
	s_wait_xcnt 0x0
	s_add_nc_u64 s[8:9], s[8:9], 1
	s_wait_kmcnt 0x0
	s_cmp_lg_u32 s10, 0
	s_cbranch_scc1 .LBB3_437
; %bb.438:
	s_get_pc_i64 s[10:11]
	s_add_nc_u64 s[10:11], s[10:11], .str.9@rel64+4
	s_delay_alu instid0(SALU_CYCLE_1) | instskip(NEXT) | instid1(SALU_CYCLE_1)
	s_sub_nc_u64 s[8:9], s[8:9], s[10:11]
	s_add_nc_u64 s[8:9], s[8:9], 1
.LBB3_439:
	s_and_b32 vcc_lo, exec_lo, s3
	s_cbranch_vccz .LBB3_518
; %bb.440:
	v_mov_b64_e32 v[10:11], 0x100000002
	s_wait_loadcnt 0x0
	v_dual_mov_b32 v9, 0 :: v_dual_bitop2_b32 v30, 2, v2 bitop3:0x40
	v_dual_mov_b32 v5, v3 :: v_dual_bitop2_b32 v4, -3, v2 bitop3:0x40
	s_branch .LBB3_442
.LBB3_441:                              ;   in Loop: Header=BB3_442 Depth=1
	s_or_b32 exec_lo, exec_lo, s14
	s_sub_nc_u64 s[8:9], s[8:9], s[10:11]
	s_add_nc_u64 s[6:7], s[6:7], s[10:11]
	s_cmp_lg_u64 s[8:9], 0
	s_cbranch_scc0 .LBB3_517
.LBB3_442:                              ; =>This Loop Header: Depth=1
                                        ;     Child Loop BB3_445 Depth 2
                                        ;     Child Loop BB3_452 Depth 2
	;; [unrolled: 1-line block ×11, first 2 shown]
	v_min_u64 v[6:7], s[8:9], 56
	v_cmp_gt_u64_e64 s3, s[8:9], 7
	s_and_b32 vcc_lo, exec_lo, s3
	v_readfirstlane_b32 s10, v6
	v_readfirstlane_b32 s11, v7
	s_cbranch_vccnz .LBB3_447
; %bb.443:                              ;   in Loop: Header=BB3_442 Depth=1
	v_mov_b64_e32 v[6:7], 0
	s_cmp_eq_u64 s[8:9], 0
	s_cbranch_scc1 .LBB3_446
; %bb.444:                              ;   in Loop: Header=BB3_442 Depth=1
	s_mov_b64 s[12:13], 0
	s_mov_b64 s[14:15], 0
.LBB3_445:                              ;   Parent Loop BB3_442 Depth=1
                                        ; =>  This Inner Loop Header: Depth=2
	s_wait_xcnt 0x0
	s_add_nc_u64 s[16:17], s[6:7], s[14:15]
	s_add_nc_u64 s[14:15], s[14:15], 1
	global_load_u8 v1, v9, s[16:17]
	s_cmp_lg_u32 s10, s14
	s_wait_loadcnt 0x0
	v_and_b32_e32 v8, 0xffff, v1
	s_delay_alu instid0(VALU_DEP_1) | instskip(SKIP_1) | instid1(VALU_DEP_1)
	v_lshlrev_b64_e32 v[12:13], s12, v[8:9]
	s_add_nc_u64 s[12:13], s[12:13], 8
	v_or_b32_e32 v6, v12, v6
	s_delay_alu instid0(VALU_DEP_2)
	v_or_b32_e32 v7, v13, v7
	s_cbranch_scc1 .LBB3_445
.LBB3_446:                              ;   in Loop: Header=BB3_442 Depth=1
	s_mov_b64 s[14:15], s[6:7]
	s_mov_b32 s3, 0
	s_cbranch_execz .LBB3_448
	s_branch .LBB3_449
.LBB3_447:                              ;   in Loop: Header=BB3_442 Depth=1
	s_add_nc_u64 s[14:15], s[6:7], 8
	s_mov_b32 s3, 0
.LBB3_448:                              ;   in Loop: Header=BB3_442 Depth=1
	global_load_b64 v[6:7], v9, s[6:7]
	s_add_co_i32 s3, s10, -8
.LBB3_449:                              ;   in Loop: Header=BB3_442 Depth=1
	s_delay_alu instid0(SALU_CYCLE_1)
	s_cmp_gt_u32 s3, 7
	s_cbranch_scc1 .LBB3_454
; %bb.450:                              ;   in Loop: Header=BB3_442 Depth=1
	v_mov_b64_e32 v[12:13], 0
	s_cmp_eq_u32 s3, 0
	s_cbranch_scc1 .LBB3_453
; %bb.451:                              ;   in Loop: Header=BB3_442 Depth=1
	s_mov_b64 s[12:13], 0
	s_wait_xcnt 0x0
	s_mov_b64 s[16:17], 0
.LBB3_452:                              ;   Parent Loop BB3_442 Depth=1
                                        ; =>  This Inner Loop Header: Depth=2
	s_wait_xcnt 0x0
	s_add_nc_u64 s[18:19], s[14:15], s[16:17]
	s_add_nc_u64 s[16:17], s[16:17], 1
	global_load_u8 v1, v9, s[18:19]
	s_cmp_lg_u32 s3, s16
	s_wait_loadcnt 0x0
	v_and_b32_e32 v8, 0xffff, v1
	s_delay_alu instid0(VALU_DEP_1) | instskip(SKIP_1) | instid1(VALU_DEP_1)
	v_lshlrev_b64_e32 v[14:15], s12, v[8:9]
	s_add_nc_u64 s[12:13], s[12:13], 8
	v_or_b32_e32 v12, v14, v12
	s_delay_alu instid0(VALU_DEP_2)
	v_or_b32_e32 v13, v15, v13
	s_cbranch_scc1 .LBB3_452
.LBB3_453:                              ;   in Loop: Header=BB3_442 Depth=1
	s_wait_xcnt 0x0
	s_mov_b64 s[12:13], s[14:15]
	s_mov_b32 s18, 0
	s_cbranch_execz .LBB3_455
	s_branch .LBB3_456
.LBB3_454:                              ;   in Loop: Header=BB3_442 Depth=1
	s_add_nc_u64 s[12:13], s[14:15], 8
	s_wait_xcnt 0x0
                                        ; implicit-def: $vgpr12_vgpr13
	s_mov_b32 s18, 0
.LBB3_455:                              ;   in Loop: Header=BB3_442 Depth=1
	global_load_b64 v[12:13], v9, s[14:15]
	s_add_co_i32 s18, s3, -8
.LBB3_456:                              ;   in Loop: Header=BB3_442 Depth=1
	s_delay_alu instid0(SALU_CYCLE_1)
	s_cmp_gt_u32 s18, 7
	s_cbranch_scc1 .LBB3_461
; %bb.457:                              ;   in Loop: Header=BB3_442 Depth=1
	v_mov_b64_e32 v[14:15], 0
	s_cmp_eq_u32 s18, 0
	s_cbranch_scc1 .LBB3_460
; %bb.458:                              ;   in Loop: Header=BB3_442 Depth=1
	s_wait_xcnt 0x0
	s_mov_b64 s[14:15], 0
	s_mov_b64 s[16:17], 0
.LBB3_459:                              ;   Parent Loop BB3_442 Depth=1
                                        ; =>  This Inner Loop Header: Depth=2
	s_wait_xcnt 0x0
	s_add_nc_u64 s[20:21], s[12:13], s[16:17]
	s_add_nc_u64 s[16:17], s[16:17], 1
	global_load_u8 v1, v9, s[20:21]
	s_cmp_lg_u32 s18, s16
	s_wait_loadcnt 0x0
	v_and_b32_e32 v8, 0xffff, v1
	s_delay_alu instid0(VALU_DEP_1) | instskip(SKIP_1) | instid1(VALU_DEP_1)
	v_lshlrev_b64_e32 v[16:17], s14, v[8:9]
	s_add_nc_u64 s[14:15], s[14:15], 8
	v_or_b32_e32 v14, v16, v14
	s_delay_alu instid0(VALU_DEP_2)
	v_or_b32_e32 v15, v17, v15
	s_cbranch_scc1 .LBB3_459
.LBB3_460:                              ;   in Loop: Header=BB3_442 Depth=1
	s_wait_xcnt 0x0
	s_mov_b64 s[14:15], s[12:13]
	s_mov_b32 s3, 0
	s_cbranch_execz .LBB3_462
	s_branch .LBB3_463
.LBB3_461:                              ;   in Loop: Header=BB3_442 Depth=1
	s_wait_xcnt 0x0
	s_add_nc_u64 s[14:15], s[12:13], 8
	s_mov_b32 s3, 0
.LBB3_462:                              ;   in Loop: Header=BB3_442 Depth=1
	global_load_b64 v[14:15], v9, s[12:13]
	s_add_co_i32 s3, s18, -8
.LBB3_463:                              ;   in Loop: Header=BB3_442 Depth=1
	s_delay_alu instid0(SALU_CYCLE_1)
	s_cmp_gt_u32 s3, 7
	s_cbranch_scc1 .LBB3_468
; %bb.464:                              ;   in Loop: Header=BB3_442 Depth=1
	v_mov_b64_e32 v[16:17], 0
	s_cmp_eq_u32 s3, 0
	s_cbranch_scc1 .LBB3_467
; %bb.465:                              ;   in Loop: Header=BB3_442 Depth=1
	s_wait_xcnt 0x0
	s_mov_b64 s[12:13], 0
	s_mov_b64 s[16:17], 0
.LBB3_466:                              ;   Parent Loop BB3_442 Depth=1
                                        ; =>  This Inner Loop Header: Depth=2
	s_wait_xcnt 0x0
	s_add_nc_u64 s[18:19], s[14:15], s[16:17]
	s_add_nc_u64 s[16:17], s[16:17], 1
	global_load_u8 v1, v9, s[18:19]
	s_cmp_lg_u32 s3, s16
	s_wait_loadcnt 0x0
	v_and_b32_e32 v8, 0xffff, v1
	s_delay_alu instid0(VALU_DEP_1) | instskip(SKIP_1) | instid1(VALU_DEP_1)
	v_lshlrev_b64_e32 v[18:19], s12, v[8:9]
	s_add_nc_u64 s[12:13], s[12:13], 8
	v_or_b32_e32 v16, v18, v16
	s_delay_alu instid0(VALU_DEP_2)
	v_or_b32_e32 v17, v19, v17
	s_cbranch_scc1 .LBB3_466
.LBB3_467:                              ;   in Loop: Header=BB3_442 Depth=1
	s_wait_xcnt 0x0
	s_mov_b64 s[12:13], s[14:15]
	s_mov_b32 s18, 0
	s_cbranch_execz .LBB3_469
	s_branch .LBB3_470
.LBB3_468:                              ;   in Loop: Header=BB3_442 Depth=1
	s_wait_xcnt 0x0
	s_add_nc_u64 s[12:13], s[14:15], 8
                                        ; implicit-def: $vgpr16_vgpr17
	s_mov_b32 s18, 0
.LBB3_469:                              ;   in Loop: Header=BB3_442 Depth=1
	global_load_b64 v[16:17], v9, s[14:15]
	s_add_co_i32 s18, s3, -8
.LBB3_470:                              ;   in Loop: Header=BB3_442 Depth=1
	s_delay_alu instid0(SALU_CYCLE_1)
	s_cmp_gt_u32 s18, 7
	s_cbranch_scc1 .LBB3_475
; %bb.471:                              ;   in Loop: Header=BB3_442 Depth=1
	v_mov_b64_e32 v[18:19], 0
	s_cmp_eq_u32 s18, 0
	s_cbranch_scc1 .LBB3_474
; %bb.472:                              ;   in Loop: Header=BB3_442 Depth=1
	s_wait_xcnt 0x0
	s_mov_b64 s[14:15], 0
	s_mov_b64 s[16:17], 0
.LBB3_473:                              ;   Parent Loop BB3_442 Depth=1
                                        ; =>  This Inner Loop Header: Depth=2
	s_wait_xcnt 0x0
	s_add_nc_u64 s[20:21], s[12:13], s[16:17]
	s_add_nc_u64 s[16:17], s[16:17], 1
	global_load_u8 v1, v9, s[20:21]
	s_cmp_lg_u32 s18, s16
	s_wait_loadcnt 0x0
	v_and_b32_e32 v8, 0xffff, v1
	s_delay_alu instid0(VALU_DEP_1) | instskip(SKIP_1) | instid1(VALU_DEP_1)
	v_lshlrev_b64_e32 v[20:21], s14, v[8:9]
	s_add_nc_u64 s[14:15], s[14:15], 8
	v_or_b32_e32 v18, v20, v18
	s_delay_alu instid0(VALU_DEP_2)
	v_or_b32_e32 v19, v21, v19
	s_cbranch_scc1 .LBB3_473
.LBB3_474:                              ;   in Loop: Header=BB3_442 Depth=1
	s_wait_xcnt 0x0
	s_mov_b64 s[14:15], s[12:13]
	s_mov_b32 s3, 0
	s_cbranch_execz .LBB3_476
	s_branch .LBB3_477
.LBB3_475:                              ;   in Loop: Header=BB3_442 Depth=1
	s_wait_xcnt 0x0
	s_add_nc_u64 s[14:15], s[12:13], 8
	s_mov_b32 s3, 0
.LBB3_476:                              ;   in Loop: Header=BB3_442 Depth=1
	global_load_b64 v[18:19], v9, s[12:13]
	s_add_co_i32 s3, s18, -8
.LBB3_477:                              ;   in Loop: Header=BB3_442 Depth=1
	s_delay_alu instid0(SALU_CYCLE_1)
	s_cmp_gt_u32 s3, 7
	s_cbranch_scc1 .LBB3_482
; %bb.478:                              ;   in Loop: Header=BB3_442 Depth=1
	v_mov_b64_e32 v[20:21], 0
	s_cmp_eq_u32 s3, 0
	s_cbranch_scc1 .LBB3_481
; %bb.479:                              ;   in Loop: Header=BB3_442 Depth=1
	s_wait_xcnt 0x0
	s_mov_b64 s[12:13], 0
	s_mov_b64 s[16:17], 0
.LBB3_480:                              ;   Parent Loop BB3_442 Depth=1
                                        ; =>  This Inner Loop Header: Depth=2
	s_wait_xcnt 0x0
	s_add_nc_u64 s[18:19], s[14:15], s[16:17]
	s_add_nc_u64 s[16:17], s[16:17], 1
	global_load_u8 v1, v9, s[18:19]
	s_cmp_lg_u32 s3, s16
	s_wait_loadcnt 0x0
	v_and_b32_e32 v8, 0xffff, v1
	s_delay_alu instid0(VALU_DEP_1) | instskip(SKIP_1) | instid1(VALU_DEP_1)
	v_lshlrev_b64_e32 v[22:23], s12, v[8:9]
	s_add_nc_u64 s[12:13], s[12:13], 8
	v_or_b32_e32 v20, v22, v20
	s_delay_alu instid0(VALU_DEP_2)
	v_or_b32_e32 v21, v23, v21
	s_cbranch_scc1 .LBB3_480
.LBB3_481:                              ;   in Loop: Header=BB3_442 Depth=1
	s_wait_xcnt 0x0
	s_mov_b64 s[12:13], s[14:15]
	s_mov_b32 s18, 0
	s_cbranch_execz .LBB3_483
	s_branch .LBB3_484
.LBB3_482:                              ;   in Loop: Header=BB3_442 Depth=1
	s_wait_xcnt 0x0
	s_add_nc_u64 s[12:13], s[14:15], 8
                                        ; implicit-def: $vgpr20_vgpr21
	s_mov_b32 s18, 0
.LBB3_483:                              ;   in Loop: Header=BB3_442 Depth=1
	global_load_b64 v[20:21], v9, s[14:15]
	s_add_co_i32 s18, s3, -8
.LBB3_484:                              ;   in Loop: Header=BB3_442 Depth=1
	s_delay_alu instid0(SALU_CYCLE_1)
	s_cmp_gt_u32 s18, 7
	s_cbranch_scc1 .LBB3_489
; %bb.485:                              ;   in Loop: Header=BB3_442 Depth=1
	v_mov_b64_e32 v[22:23], 0
	s_cmp_eq_u32 s18, 0
	s_cbranch_scc1 .LBB3_488
; %bb.486:                              ;   in Loop: Header=BB3_442 Depth=1
	s_wait_xcnt 0x0
	s_mov_b64 s[14:15], 0
	s_mov_b64 s[16:17], s[12:13]
.LBB3_487:                              ;   Parent Loop BB3_442 Depth=1
                                        ; =>  This Inner Loop Header: Depth=2
	global_load_u8 v1, v9, s[16:17]
	s_add_co_i32 s18, s18, -1
	s_wait_xcnt 0x0
	s_add_nc_u64 s[16:17], s[16:17], 1
	s_cmp_lg_u32 s18, 0
	s_wait_loadcnt 0x0
	v_and_b32_e32 v8, 0xffff, v1
	s_delay_alu instid0(VALU_DEP_1) | instskip(SKIP_1) | instid1(VALU_DEP_1)
	v_lshlrev_b64_e32 v[24:25], s14, v[8:9]
	s_add_nc_u64 s[14:15], s[14:15], 8
	v_or_b32_e32 v22, v24, v22
	s_delay_alu instid0(VALU_DEP_2)
	v_or_b32_e32 v23, v25, v23
	s_cbranch_scc1 .LBB3_487
.LBB3_488:                              ;   in Loop: Header=BB3_442 Depth=1
	s_cbranch_execz .LBB3_490
	s_branch .LBB3_491
.LBB3_489:                              ;   in Loop: Header=BB3_442 Depth=1
.LBB3_490:                              ;   in Loop: Header=BB3_442 Depth=1
	global_load_b64 v[22:23], v9, s[12:13]
.LBB3_491:                              ;   in Loop: Header=BB3_442 Depth=1
	v_readfirstlane_b32 s3, v29
	v_mov_b64_e32 v[32:33], 0
	s_delay_alu instid0(VALU_DEP_2)
	v_cmp_eq_u32_e64 s3, s3, v29
	s_wait_xcnt 0x0
	s_and_saveexec_b32 s12, s3
	s_cbranch_execz .LBB3_497
; %bb.492:                              ;   in Loop: Header=BB3_442 Depth=1
	global_load_b64 v[26:27], v9, s[4:5] offset:24 scope:SCOPE_SYS
	s_wait_loadcnt 0x0
	global_inv scope:SCOPE_SYS
	s_clause 0x1
	global_load_b64 v[24:25], v9, s[4:5] offset:40
	global_load_b64 v[32:33], v9, s[4:5]
	s_mov_b32 s13, exec_lo
	s_wait_loadcnt 0x1
	v_and_b32_e32 v24, v24, v26
	v_and_b32_e32 v25, v25, v27
	s_delay_alu instid0(VALU_DEP_1) | instskip(SKIP_1) | instid1(VALU_DEP_1)
	v_mul_u64_e32 v[24:25], 24, v[24:25]
	s_wait_loadcnt 0x0
	v_add_nc_u64_e32 v[24:25], v[32:33], v[24:25]
	global_load_b64 v[24:25], v[24:25], off scope:SCOPE_SYS
	s_wait_xcnt 0x0
	s_wait_loadcnt 0x0
	global_atomic_cmpswap_b64 v[32:33], v9, v[24:27], s[4:5] offset:24 th:TH_ATOMIC_RETURN scope:SCOPE_SYS
	s_wait_loadcnt 0x0
	global_inv scope:SCOPE_SYS
	s_wait_xcnt 0x0
	v_cmpx_ne_u64_e64 v[32:33], v[26:27]
	s_cbranch_execz .LBB3_496
; %bb.493:                              ;   in Loop: Header=BB3_442 Depth=1
	s_mov_b32 s14, 0
.LBB3_494:                              ;   Parent Loop BB3_442 Depth=1
                                        ; =>  This Inner Loop Header: Depth=2
	s_sleep 1
	s_clause 0x1
	global_load_b64 v[24:25], v9, s[4:5] offset:40
	global_load_b64 v[34:35], v9, s[4:5]
	v_mov_b64_e32 v[26:27], v[32:33]
	s_wait_loadcnt 0x1
	s_delay_alu instid0(VALU_DEP_1) | instskip(SKIP_1) | instid1(VALU_DEP_1)
	v_and_b32_e32 v1, v24, v26
	s_wait_loadcnt 0x0
	v_mad_nc_u64_u32 v[32:33], v1, 24, v[34:35]
	s_delay_alu instid0(VALU_DEP_3) | instskip(NEXT) | instid1(VALU_DEP_1)
	v_and_b32_e32 v1, v25, v27
	v_mad_u32 v33, v1, 24, v33
	global_load_b64 v[24:25], v[32:33], off scope:SCOPE_SYS
	s_wait_xcnt 0x0
	s_wait_loadcnt 0x0
	global_atomic_cmpswap_b64 v[32:33], v9, v[24:27], s[4:5] offset:24 th:TH_ATOMIC_RETURN scope:SCOPE_SYS
	s_wait_loadcnt 0x0
	global_inv scope:SCOPE_SYS
	v_cmp_eq_u64_e32 vcc_lo, v[32:33], v[26:27]
	s_or_b32 s14, vcc_lo, s14
	s_wait_xcnt 0x0
	s_and_not1_b32 exec_lo, exec_lo, s14
	s_cbranch_execnz .LBB3_494
; %bb.495:                              ;   in Loop: Header=BB3_442 Depth=1
	s_or_b32 exec_lo, exec_lo, s14
.LBB3_496:                              ;   in Loop: Header=BB3_442 Depth=1
	s_delay_alu instid0(SALU_CYCLE_1)
	s_or_b32 exec_lo, exec_lo, s13
.LBB3_497:                              ;   in Loop: Header=BB3_442 Depth=1
	s_delay_alu instid0(SALU_CYCLE_1)
	s_or_b32 exec_lo, exec_lo, s12
	s_clause 0x1
	global_load_b64 v[34:35], v9, s[4:5] offset:40
	global_load_b128 v[24:27], v9, s[4:5]
	v_readfirstlane_b32 s12, v32
	v_readfirstlane_b32 s13, v33
	s_mov_b32 s14, exec_lo
	s_wait_loadcnt 0x1
	v_and_b32_e32 v34, s12, v34
	v_and_b32_e32 v35, s13, v35
	s_delay_alu instid0(VALU_DEP_1) | instskip(SKIP_1) | instid1(VALU_DEP_1)
	v_mul_u64_e32 v[32:33], 24, v[34:35]
	s_wait_loadcnt 0x0
	v_add_nc_u64_e32 v[32:33], v[24:25], v[32:33]
	s_wait_xcnt 0x0
	s_and_saveexec_b32 s15, s3
	s_cbranch_execz .LBB3_499
; %bb.498:                              ;   in Loop: Header=BB3_442 Depth=1
	v_mov_b32_e32 v8, s14
	global_store_b128 v[32:33], v[8:11], off offset:8
.LBB3_499:                              ;   in Loop: Header=BB3_442 Depth=1
	s_wait_xcnt 0x0
	s_or_b32 exec_lo, exec_lo, s15
	v_cmp_lt_u64_e64 vcc_lo, s[8:9], 57
	v_lshlrev_b64_e32 v[34:35], 12, v[34:35]
	v_and_b32_e32 v4, 0xffffff1f, v4
	s_lshl_b32 s14, s10, 2
	s_delay_alu instid0(SALU_CYCLE_1) | instskip(SKIP_1) | instid1(VALU_DEP_3)
	s_add_co_i32 s14, s14, 28
	v_cndmask_b32_e32 v1, 0, v30, vcc_lo
	v_add_nc_u64_e32 v[26:27], v[26:27], v[34:35]
	s_delay_alu instid0(VALU_DEP_2) | instskip(NEXT) | instid1(VALU_DEP_2)
	v_or_b32_e32 v1, v4, v1
	v_readfirstlane_b32 s15, v27
	s_delay_alu instid0(VALU_DEP_2) | instskip(NEXT) | instid1(VALU_DEP_4)
	v_and_or_b32 v4, 0x1e0, s14, v1
	v_readfirstlane_b32 s14, v26
	s_clause 0x3
	global_store_b128 v0, v[4:7], s[14:15]
	global_store_b128 v0, v[12:15], s[14:15] offset:16
	global_store_b128 v0, v[16:19], s[14:15] offset:32
	;; [unrolled: 1-line block ×3, first 2 shown]
	s_wait_xcnt 0x0
	s_and_saveexec_b32 s14, s3
	s_cbranch_execz .LBB3_507
; %bb.500:                              ;   in Loop: Header=BB3_442 Depth=1
	s_clause 0x1
	global_load_b64 v[16:17], v9, s[4:5] offset:32 scope:SCOPE_SYS
	global_load_b64 v[4:5], v9, s[4:5] offset:40
	s_mov_b32 s15, exec_lo
	v_dual_mov_b32 v14, s12 :: v_dual_mov_b32 v15, s13
	s_wait_loadcnt 0x0
	v_and_b32_e32 v5, s13, v5
	v_and_b32_e32 v4, s12, v4
	s_delay_alu instid0(VALU_DEP_1) | instskip(NEXT) | instid1(VALU_DEP_1)
	v_mul_u64_e32 v[4:5], 24, v[4:5]
	v_add_nc_u64_e32 v[12:13], v[24:25], v[4:5]
	global_store_b64 v[12:13], v[16:17], off
	global_wb scope:SCOPE_SYS
	s_wait_storecnt 0x0
	s_wait_xcnt 0x0
	global_atomic_cmpswap_b64 v[6:7], v9, v[14:17], s[4:5] offset:32 th:TH_ATOMIC_RETURN scope:SCOPE_SYS
	s_wait_loadcnt 0x0
	v_cmpx_ne_u64_e64 v[6:7], v[16:17]
	s_cbranch_execz .LBB3_503
; %bb.501:                              ;   in Loop: Header=BB3_442 Depth=1
	s_mov_b32 s16, 0
.LBB3_502:                              ;   Parent Loop BB3_442 Depth=1
                                        ; =>  This Inner Loop Header: Depth=2
	v_dual_mov_b32 v4, s12 :: v_dual_mov_b32 v5, s13
	s_sleep 1
	global_store_b64 v[12:13], v[6:7], off
	global_wb scope:SCOPE_SYS
	s_wait_storecnt 0x0
	s_wait_xcnt 0x0
	global_atomic_cmpswap_b64 v[4:5], v9, v[4:7], s[4:5] offset:32 th:TH_ATOMIC_RETURN scope:SCOPE_SYS
	s_wait_loadcnt 0x0
	v_cmp_eq_u64_e32 vcc_lo, v[4:5], v[6:7]
	v_mov_b64_e32 v[6:7], v[4:5]
	s_or_b32 s16, vcc_lo, s16
	s_delay_alu instid0(SALU_CYCLE_1)
	s_and_not1_b32 exec_lo, exec_lo, s16
	s_cbranch_execnz .LBB3_502
.LBB3_503:                              ;   in Loop: Header=BB3_442 Depth=1
	s_or_b32 exec_lo, exec_lo, s15
	global_load_b64 v[4:5], v9, s[4:5] offset:16
	s_mov_b32 s16, exec_lo
	s_mov_b32 s15, exec_lo
	v_mbcnt_lo_u32_b32 v1, s16, 0
	s_wait_xcnt 0x0
	s_delay_alu instid0(VALU_DEP_1)
	v_cmpx_eq_u32_e32 0, v1
	s_cbranch_execz .LBB3_505
; %bb.504:                              ;   in Loop: Header=BB3_442 Depth=1
	s_bcnt1_i32_b32 s16, s16
	s_delay_alu instid0(SALU_CYCLE_1)
	v_mov_b32_e32 v8, s16
	global_wb scope:SCOPE_SYS
	s_wait_loadcnt 0x0
	s_wait_storecnt 0x0
	global_atomic_add_u64 v[4:5], v[8:9], off offset:8 scope:SCOPE_SYS
.LBB3_505:                              ;   in Loop: Header=BB3_442 Depth=1
	s_wait_xcnt 0x0
	s_or_b32 exec_lo, exec_lo, s15
	s_wait_loadcnt 0x0
	global_load_b64 v[6:7], v[4:5], off offset:16
	s_wait_loadcnt 0x0
	v_cmp_eq_u64_e32 vcc_lo, 0, v[6:7]
	s_cbranch_vccnz .LBB3_507
; %bb.506:                              ;   in Loop: Header=BB3_442 Depth=1
	global_load_b32 v8, v[4:5], off offset:24
	s_wait_loadcnt 0x0
	v_readfirstlane_b32 s15, v8
	global_wb scope:SCOPE_SYS
	s_wait_storecnt 0x0
	s_wait_xcnt 0x0
	global_store_b64 v[6:7], v[8:9], off scope:SCOPE_SYS
	s_and_b32 m0, s15, 0xffffff
	s_sendmsg sendmsg(MSG_INTERRUPT)
.LBB3_507:                              ;   in Loop: Header=BB3_442 Depth=1
	s_wait_xcnt 0x0
	s_or_b32 exec_lo, exec_lo, s14
	v_mov_b32_e32 v1, v9
	s_delay_alu instid0(VALU_DEP_1)
	v_add_nc_u64_e32 v[4:5], v[26:27], v[0:1]
	s_branch .LBB3_511
.LBB3_508:                              ;   in Loop: Header=BB3_511 Depth=2
	s_wait_xcnt 0x0
	s_or_b32 exec_lo, exec_lo, s14
	s_delay_alu instid0(VALU_DEP_1)
	v_readfirstlane_b32 s14, v1
	s_cmp_eq_u32 s14, 0
	s_cbranch_scc1 .LBB3_510
; %bb.509:                              ;   in Loop: Header=BB3_511 Depth=2
	s_sleep 1
	s_cbranch_execnz .LBB3_511
	s_branch .LBB3_513
.LBB3_510:                              ;   in Loop: Header=BB3_442 Depth=1
	s_branch .LBB3_513
.LBB3_511:                              ;   Parent Loop BB3_442 Depth=1
                                        ; =>  This Inner Loop Header: Depth=2
	v_mov_b32_e32 v1, 1
	s_and_saveexec_b32 s14, s3
	s_cbranch_execz .LBB3_508
; %bb.512:                              ;   in Loop: Header=BB3_511 Depth=2
	global_load_b32 v1, v[32:33], off offset:20 scope:SCOPE_SYS
	s_wait_loadcnt 0x0
	global_inv scope:SCOPE_SYS
	v_and_b32_e32 v1, 1, v1
	s_branch .LBB3_508
.LBB3_513:                              ;   in Loop: Header=BB3_442 Depth=1
	global_load_b64 v[4:5], v[4:5], off
	s_wait_xcnt 0x0
	s_and_saveexec_b32 s14, s3
	s_cbranch_execz .LBB3_441
; %bb.514:                              ;   in Loop: Header=BB3_442 Depth=1
	s_clause 0x2
	global_load_b64 v[6:7], v9, s[4:5] offset:40
	global_load_b64 v[16:17], v9, s[4:5] offset:24 scope:SCOPE_SYS
	global_load_b64 v[12:13], v9, s[4:5]
	s_wait_loadcnt 0x2
	v_readfirstlane_b32 s16, v6
	v_readfirstlane_b32 s17, v7
	s_add_nc_u64 s[18:19], s[16:17], 1
	s_delay_alu instid0(SALU_CYCLE_1) | instskip(NEXT) | instid1(SALU_CYCLE_1)
	s_add_nc_u64 s[12:13], s[18:19], s[12:13]
	s_cmp_eq_u64 s[12:13], 0
	s_cselect_b32 s13, s19, s13
	s_cselect_b32 s12, s18, s12
	s_delay_alu instid0(SALU_CYCLE_1) | instskip(SKIP_1) | instid1(SALU_CYCLE_1)
	v_dual_mov_b32 v15, s13 :: v_dual_mov_b32 v14, s12
	s_and_b64 s[16:17], s[12:13], s[16:17]
	s_mul_u64 s[16:17], s[16:17], 24
	s_wait_loadcnt 0x0
	v_add_nc_u64_e32 v[6:7], s[16:17], v[12:13]
	global_store_b64 v[6:7], v[16:17], off
	global_wb scope:SCOPE_SYS
	s_wait_storecnt 0x0
	s_wait_xcnt 0x0
	global_atomic_cmpswap_b64 v[14:15], v9, v[14:17], s[4:5] offset:24 th:TH_ATOMIC_RETURN scope:SCOPE_SYS
	s_wait_loadcnt 0x0
	v_cmp_ne_u64_e32 vcc_lo, v[14:15], v[16:17]
	s_and_b32 exec_lo, exec_lo, vcc_lo
	s_cbranch_execz .LBB3_441
; %bb.515:                              ;   in Loop: Header=BB3_442 Depth=1
	s_mov_b32 s3, 0
.LBB3_516:                              ;   Parent Loop BB3_442 Depth=1
                                        ; =>  This Inner Loop Header: Depth=2
	v_dual_mov_b32 v12, s12 :: v_dual_mov_b32 v13, s13
	s_sleep 1
	global_store_b64 v[6:7], v[14:15], off
	global_wb scope:SCOPE_SYS
	s_wait_storecnt 0x0
	s_wait_xcnt 0x0
	global_atomic_cmpswap_b64 v[12:13], v9, v[12:15], s[4:5] offset:24 th:TH_ATOMIC_RETURN scope:SCOPE_SYS
	s_wait_loadcnt 0x0
	v_cmp_eq_u64_e32 vcc_lo, v[12:13], v[14:15]
	v_mov_b64_e32 v[14:15], v[12:13]
	s_or_b32 s3, vcc_lo, s3
	s_delay_alu instid0(SALU_CYCLE_1)
	s_and_not1_b32 exec_lo, exec_lo, s3
	s_cbranch_execnz .LBB3_516
	s_branch .LBB3_441
.LBB3_517:
	s_branch .LBB3_546
.LBB3_518:
                                        ; implicit-def: $vgpr4_vgpr5
	s_cbranch_execz .LBB3_546
; %bb.519:
	v_readfirstlane_b32 s3, v29
	s_wait_loadcnt 0x0
	v_mov_b64_e32 v[4:5], 0
	s_delay_alu instid0(VALU_DEP_2)
	v_cmp_eq_u32_e64 s3, s3, v29
	s_and_saveexec_b32 s6, s3
	s_cbranch_execz .LBB3_525
; %bb.520:
	v_mov_b32_e32 v1, 0
	s_mov_b32 s7, exec_lo
	global_load_b64 v[6:7], v1, s[4:5] offset:24 scope:SCOPE_SYS
	s_wait_loadcnt 0x0
	global_inv scope:SCOPE_SYS
	s_clause 0x1
	global_load_b64 v[4:5], v1, s[4:5] offset:40
	global_load_b64 v[8:9], v1, s[4:5]
	s_wait_loadcnt 0x1
	v_and_b32_e32 v4, v4, v6
	v_and_b32_e32 v5, v5, v7
	s_delay_alu instid0(VALU_DEP_1) | instskip(SKIP_1) | instid1(VALU_DEP_1)
	v_mul_u64_e32 v[4:5], 24, v[4:5]
	s_wait_loadcnt 0x0
	v_add_nc_u64_e32 v[4:5], v[8:9], v[4:5]
	global_load_b64 v[4:5], v[4:5], off scope:SCOPE_SYS
	s_wait_xcnt 0x0
	s_wait_loadcnt 0x0
	global_atomic_cmpswap_b64 v[4:5], v1, v[4:7], s[4:5] offset:24 th:TH_ATOMIC_RETURN scope:SCOPE_SYS
	s_wait_loadcnt 0x0
	global_inv scope:SCOPE_SYS
	s_wait_xcnt 0x0
	v_cmpx_ne_u64_e64 v[4:5], v[6:7]
	s_cbranch_execz .LBB3_524
; %bb.521:
	s_mov_b32 s8, 0
.LBB3_522:                              ; =>This Inner Loop Header: Depth=1
	s_sleep 1
	s_clause 0x1
	global_load_b64 v[8:9], v1, s[4:5] offset:40
	global_load_b64 v[10:11], v1, s[4:5]
	v_mov_b64_e32 v[6:7], v[4:5]
	s_wait_loadcnt 0x1
	s_delay_alu instid0(VALU_DEP_1) | instskip(NEXT) | instid1(VALU_DEP_2)
	v_and_b32_e32 v4, v8, v6
	v_and_b32_e32 v8, v9, v7
	s_wait_loadcnt 0x0
	s_delay_alu instid0(VALU_DEP_2) | instskip(NEXT) | instid1(VALU_DEP_1)
	v_mad_nc_u64_u32 v[4:5], v4, 24, v[10:11]
	v_mad_u32 v5, v8, 24, v5
	global_load_b64 v[4:5], v[4:5], off scope:SCOPE_SYS
	s_wait_xcnt 0x0
	s_wait_loadcnt 0x0
	global_atomic_cmpswap_b64 v[4:5], v1, v[4:7], s[4:5] offset:24 th:TH_ATOMIC_RETURN scope:SCOPE_SYS
	s_wait_loadcnt 0x0
	global_inv scope:SCOPE_SYS
	v_cmp_eq_u64_e32 vcc_lo, v[4:5], v[6:7]
	s_or_b32 s8, vcc_lo, s8
	s_wait_xcnt 0x0
	s_and_not1_b32 exec_lo, exec_lo, s8
	s_cbranch_execnz .LBB3_522
; %bb.523:
	s_or_b32 exec_lo, exec_lo, s8
.LBB3_524:
	s_delay_alu instid0(SALU_CYCLE_1)
	s_or_b32 exec_lo, exec_lo, s7
.LBB3_525:
	s_delay_alu instid0(SALU_CYCLE_1)
	s_or_b32 exec_lo, exec_lo, s6
	v_readfirstlane_b32 s6, v4
	v_mov_b32_e32 v1, 0
	v_readfirstlane_b32 s7, v5
	s_mov_b32 s8, exec_lo
	s_clause 0x1
	global_load_b64 v[10:11], v1, s[4:5] offset:40
	global_load_b128 v[6:9], v1, s[4:5]
	s_wait_loadcnt 0x1
	v_and_b32_e32 v4, s6, v10
	v_and_b32_e32 v5, s7, v11
	s_delay_alu instid0(VALU_DEP_1) | instskip(SKIP_1) | instid1(VALU_DEP_1)
	v_mul_u64_e32 v[10:11], 24, v[4:5]
	s_wait_loadcnt 0x0
	v_add_nc_u64_e32 v[10:11], v[6:7], v[10:11]
	s_wait_xcnt 0x0
	s_and_saveexec_b32 s9, s3
	s_cbranch_execz .LBB3_527
; %bb.526:
	v_mov_b64_e32 v[14:15], 0x100000002
	v_dual_mov_b32 v12, s8 :: v_dual_mov_b32 v13, v1
	global_store_b128 v[10:11], v[12:15], off offset:8
.LBB3_527:
	s_wait_xcnt 0x0
	s_or_b32 exec_lo, exec_lo, s9
	v_lshlrev_b64_e32 v[4:5], 12, v[4:5]
	s_mov_b32 s8, 0
	v_and_or_b32 v2, 0xffffff1f, v2, 32
	s_mov_b32 s10, s8
	s_mov_b32 s11, s8
	;; [unrolled: 1-line block ×3, first 2 shown]
	v_mov_b64_e32 v[14:15], s[10:11]
	v_add_nc_u64_e32 v[8:9], v[8:9], v[4:5]
	v_mov_b64_e32 v[12:13], s[8:9]
	v_dual_mov_b32 v4, v1 :: v_dual_mov_b32 v5, v1
	s_delay_alu instid0(VALU_DEP_3) | instskip(NEXT) | instid1(VALU_DEP_4)
	v_readfirstlane_b32 s12, v8
	v_readfirstlane_b32 s13, v9
	s_clause 0x3
	global_store_b128 v0, v[2:5], s[12:13]
	global_store_b128 v0, v[12:15], s[12:13] offset:16
	global_store_b128 v0, v[12:15], s[12:13] offset:32
	;; [unrolled: 1-line block ×3, first 2 shown]
	s_wait_xcnt 0x0
	s_and_saveexec_b32 s8, s3
	s_cbranch_execz .LBB3_535
; %bb.528:
	v_dual_mov_b32 v12, 0 :: v_dual_mov_b32 v15, s7
	s_mov_b32 s9, exec_lo
	s_clause 0x1
	global_load_b64 v[16:17], v12, s[4:5] offset:32 scope:SCOPE_SYS
	global_load_b64 v[2:3], v12, s[4:5] offset:40
	s_wait_loadcnt 0x0
	v_dual_mov_b32 v14, s6 :: v_dual_bitop2_b32 v3, s7, v3 bitop3:0x40
	v_and_b32_e32 v2, s6, v2
	s_delay_alu instid0(VALU_DEP_1) | instskip(NEXT) | instid1(VALU_DEP_1)
	v_mul_u64_e32 v[2:3], 24, v[2:3]
	v_add_nc_u64_e32 v[6:7], v[6:7], v[2:3]
	global_store_b64 v[6:7], v[16:17], off
	global_wb scope:SCOPE_SYS
	s_wait_storecnt 0x0
	s_wait_xcnt 0x0
	global_atomic_cmpswap_b64 v[4:5], v12, v[14:17], s[4:5] offset:32 th:TH_ATOMIC_RETURN scope:SCOPE_SYS
	s_wait_loadcnt 0x0
	v_cmpx_ne_u64_e64 v[4:5], v[16:17]
	s_cbranch_execz .LBB3_531
; %bb.529:
	s_mov_b32 s10, 0
.LBB3_530:                              ; =>This Inner Loop Header: Depth=1
	v_dual_mov_b32 v2, s6 :: v_dual_mov_b32 v3, s7
	s_sleep 1
	global_store_b64 v[6:7], v[4:5], off
	global_wb scope:SCOPE_SYS
	s_wait_storecnt 0x0
	s_wait_xcnt 0x0
	global_atomic_cmpswap_b64 v[2:3], v12, v[2:5], s[4:5] offset:32 th:TH_ATOMIC_RETURN scope:SCOPE_SYS
	s_wait_loadcnt 0x0
	v_cmp_eq_u64_e32 vcc_lo, v[2:3], v[4:5]
	v_mov_b64_e32 v[4:5], v[2:3]
	s_or_b32 s10, vcc_lo, s10
	s_delay_alu instid0(SALU_CYCLE_1)
	s_and_not1_b32 exec_lo, exec_lo, s10
	s_cbranch_execnz .LBB3_530
.LBB3_531:
	s_or_b32 exec_lo, exec_lo, s9
	v_mov_b32_e32 v5, 0
	s_mov_b32 s10, exec_lo
	s_mov_b32 s9, exec_lo
	v_mbcnt_lo_u32_b32 v4, s10, 0
	global_load_b64 v[2:3], v5, s[4:5] offset:16
	s_wait_xcnt 0x0
	v_cmpx_eq_u32_e32 0, v4
	s_cbranch_execz .LBB3_533
; %bb.532:
	s_bcnt1_i32_b32 s10, s10
	s_delay_alu instid0(SALU_CYCLE_1)
	v_mov_b32_e32 v4, s10
	global_wb scope:SCOPE_SYS
	s_wait_loadcnt 0x0
	s_wait_storecnt 0x0
	global_atomic_add_u64 v[2:3], v[4:5], off offset:8 scope:SCOPE_SYS
.LBB3_533:
	s_wait_xcnt 0x0
	s_or_b32 exec_lo, exec_lo, s9
	s_wait_loadcnt 0x0
	global_load_b64 v[4:5], v[2:3], off offset:16
	s_wait_loadcnt 0x0
	v_cmp_eq_u64_e32 vcc_lo, 0, v[4:5]
	s_cbranch_vccnz .LBB3_535
; %bb.534:
	global_load_b32 v2, v[2:3], off offset:24
	s_wait_xcnt 0x0
	v_mov_b32_e32 v3, 0
	s_wait_loadcnt 0x0
	v_readfirstlane_b32 s9, v2
	global_wb scope:SCOPE_SYS
	s_wait_storecnt 0x0
	global_store_b64 v[4:5], v[2:3], off scope:SCOPE_SYS
	s_and_b32 m0, s9, 0xffffff
	s_sendmsg sendmsg(MSG_INTERRUPT)
.LBB3_535:
	s_wait_xcnt 0x0
	s_or_b32 exec_lo, exec_lo, s8
	v_add_nc_u64_e32 v[2:3], v[8:9], v[0:1]
	s_branch .LBB3_539
.LBB3_536:                              ;   in Loop: Header=BB3_539 Depth=1
	s_wait_xcnt 0x0
	s_or_b32 exec_lo, exec_lo, s8
	s_delay_alu instid0(VALU_DEP_1)
	v_readfirstlane_b32 s8, v1
	s_cmp_eq_u32 s8, 0
	s_cbranch_scc1 .LBB3_538
; %bb.537:                              ;   in Loop: Header=BB3_539 Depth=1
	s_sleep 1
	s_cbranch_execnz .LBB3_539
	s_branch .LBB3_541
.LBB3_538:
	s_branch .LBB3_541
.LBB3_539:                              ; =>This Inner Loop Header: Depth=1
	v_mov_b32_e32 v1, 1
	s_and_saveexec_b32 s8, s3
	s_cbranch_execz .LBB3_536
; %bb.540:                              ;   in Loop: Header=BB3_539 Depth=1
	global_load_b32 v1, v[10:11], off offset:20 scope:SCOPE_SYS
	s_wait_loadcnt 0x0
	global_inv scope:SCOPE_SYS
	v_and_b32_e32 v1, 1, v1
	s_branch .LBB3_536
.LBB3_541:
	global_load_b64 v[4:5], v[2:3], off
	s_wait_xcnt 0x0
	s_and_saveexec_b32 s8, s3
	s_cbranch_execz .LBB3_545
; %bb.542:
	v_mov_b32_e32 v1, 0
	s_clause 0x2
	global_load_b64 v[2:3], v1, s[4:5] offset:40
	global_load_b64 v[10:11], v1, s[4:5] offset:24 scope:SCOPE_SYS
	global_load_b64 v[6:7], v1, s[4:5]
	s_wait_loadcnt 0x2
	v_readfirstlane_b32 s10, v2
	v_readfirstlane_b32 s11, v3
	s_add_nc_u64 s[12:13], s[10:11], 1
	s_delay_alu instid0(SALU_CYCLE_1) | instskip(NEXT) | instid1(SALU_CYCLE_1)
	s_add_nc_u64 s[6:7], s[12:13], s[6:7]
	s_cmp_eq_u64 s[6:7], 0
	s_cselect_b32 s7, s13, s7
	s_cselect_b32 s6, s12, s6
	v_mov_b32_e32 v9, s7
	s_and_b64 s[10:11], s[6:7], s[10:11]
	v_mov_b32_e32 v8, s6
	s_mul_u64 s[10:11], s[10:11], 24
	s_wait_loadcnt 0x0
	v_add_nc_u64_e32 v[2:3], s[10:11], v[6:7]
	global_store_b64 v[2:3], v[10:11], off
	global_wb scope:SCOPE_SYS
	s_wait_storecnt 0x0
	s_wait_xcnt 0x0
	global_atomic_cmpswap_b64 v[8:9], v1, v[8:11], s[4:5] offset:24 th:TH_ATOMIC_RETURN scope:SCOPE_SYS
	s_wait_loadcnt 0x0
	v_cmp_ne_u64_e32 vcc_lo, v[8:9], v[10:11]
	s_and_b32 exec_lo, exec_lo, vcc_lo
	s_cbranch_execz .LBB3_545
; %bb.543:
	s_mov_b32 s3, 0
.LBB3_544:                              ; =>This Inner Loop Header: Depth=1
	v_dual_mov_b32 v6, s6 :: v_dual_mov_b32 v7, s7
	s_sleep 1
	global_store_b64 v[2:3], v[8:9], off
	global_wb scope:SCOPE_SYS
	s_wait_storecnt 0x0
	s_wait_xcnt 0x0
	global_atomic_cmpswap_b64 v[6:7], v1, v[6:9], s[4:5] offset:24 th:TH_ATOMIC_RETURN scope:SCOPE_SYS
	s_wait_loadcnt 0x0
	v_cmp_eq_u64_e32 vcc_lo, v[6:7], v[8:9]
	v_mov_b64_e32 v[8:9], v[6:7]
	s_or_b32 s3, vcc_lo, s3
	s_delay_alu instid0(SALU_CYCLE_1)
	s_and_not1_b32 exec_lo, exec_lo, s3
	s_cbranch_execnz .LBB3_544
.LBB3_545:
	s_or_b32 exec_lo, exec_lo, s8
.LBB3_546:
	v_readfirstlane_b32 s3, v29
	s_wait_loadcnt 0x0
	v_mov_b64_e32 v[2:3], 0
	s_delay_alu instid0(VALU_DEP_2)
	v_cmp_eq_u32_e64 s3, s3, v29
	s_and_saveexec_b32 s6, s3
	s_cbranch_execz .LBB3_552
; %bb.547:
	v_mov_b32_e32 v1, 0
	s_mov_b32 s7, exec_lo
	global_load_b64 v[8:9], v1, s[4:5] offset:24 scope:SCOPE_SYS
	s_wait_loadcnt 0x0
	global_inv scope:SCOPE_SYS
	s_clause 0x1
	global_load_b64 v[2:3], v1, s[4:5] offset:40
	global_load_b64 v[6:7], v1, s[4:5]
	s_wait_loadcnt 0x1
	v_and_b32_e32 v2, v2, v8
	v_and_b32_e32 v3, v3, v9
	s_delay_alu instid0(VALU_DEP_1) | instskip(SKIP_1) | instid1(VALU_DEP_1)
	v_mul_u64_e32 v[2:3], 24, v[2:3]
	s_wait_loadcnt 0x0
	v_add_nc_u64_e32 v[2:3], v[6:7], v[2:3]
	global_load_b64 v[6:7], v[2:3], off scope:SCOPE_SYS
	s_wait_xcnt 0x0
	s_wait_loadcnt 0x0
	global_atomic_cmpswap_b64 v[2:3], v1, v[6:9], s[4:5] offset:24 th:TH_ATOMIC_RETURN scope:SCOPE_SYS
	s_wait_loadcnt 0x0
	global_inv scope:SCOPE_SYS
	s_wait_xcnt 0x0
	v_cmpx_ne_u64_e64 v[2:3], v[8:9]
	s_cbranch_execz .LBB3_551
; %bb.548:
	s_mov_b32 s8, 0
.LBB3_549:                              ; =>This Inner Loop Header: Depth=1
	s_sleep 1
	s_clause 0x1
	global_load_b64 v[6:7], v1, s[4:5] offset:40
	global_load_b64 v[10:11], v1, s[4:5]
	v_mov_b64_e32 v[8:9], v[2:3]
	s_wait_loadcnt 0x1
	s_delay_alu instid0(VALU_DEP_1) | instskip(NEXT) | instid1(VALU_DEP_2)
	v_and_b32_e32 v2, v6, v8
	v_and_b32_e32 v6, v7, v9
	s_wait_loadcnt 0x0
	s_delay_alu instid0(VALU_DEP_2) | instskip(NEXT) | instid1(VALU_DEP_1)
	v_mad_nc_u64_u32 v[2:3], v2, 24, v[10:11]
	v_mad_u32 v3, v6, 24, v3
	global_load_b64 v[6:7], v[2:3], off scope:SCOPE_SYS
	s_wait_xcnt 0x0
	s_wait_loadcnt 0x0
	global_atomic_cmpswap_b64 v[2:3], v1, v[6:9], s[4:5] offset:24 th:TH_ATOMIC_RETURN scope:SCOPE_SYS
	s_wait_loadcnt 0x0
	global_inv scope:SCOPE_SYS
	v_cmp_eq_u64_e32 vcc_lo, v[2:3], v[8:9]
	s_or_b32 s8, vcc_lo, s8
	s_wait_xcnt 0x0
	s_and_not1_b32 exec_lo, exec_lo, s8
	s_cbranch_execnz .LBB3_549
; %bb.550:
	s_or_b32 exec_lo, exec_lo, s8
.LBB3_551:
	s_delay_alu instid0(SALU_CYCLE_1)
	s_or_b32 exec_lo, exec_lo, s7
.LBB3_552:
	s_delay_alu instid0(SALU_CYCLE_1)
	s_or_b32 exec_lo, exec_lo, s6
	v_readfirstlane_b32 s6, v2
	v_mov_b32_e32 v1, 0
	v_readfirstlane_b32 s7, v3
	s_mov_b32 s8, exec_lo
	s_clause 0x1
	global_load_b64 v[6:7], v1, s[4:5] offset:40
	global_load_b128 v[8:11], v1, s[4:5]
	s_wait_loadcnt 0x1
	v_and_b32_e32 v2, s6, v6
	v_and_b32_e32 v3, s7, v7
	s_delay_alu instid0(VALU_DEP_1) | instskip(SKIP_1) | instid1(VALU_DEP_1)
	v_mul_u64_e32 v[6:7], 24, v[2:3]
	s_wait_loadcnt 0x0
	v_add_nc_u64_e32 v[12:13], v[8:9], v[6:7]
	s_wait_xcnt 0x0
	s_and_saveexec_b32 s9, s3
	s_cbranch_execz .LBB3_554
; %bb.553:
	v_mov_b64_e32 v[16:17], 0x100000002
	v_dual_mov_b32 v14, s8 :: v_dual_mov_b32 v15, v1
	global_store_b128 v[12:13], v[14:17], off offset:8
.LBB3_554:
	s_wait_xcnt 0x0
	s_or_b32 exec_lo, exec_lo, s9
	v_lshlrev_b64_e32 v[2:3], 12, v[2:3]
	s_mov_b32 s8, 0
	v_and_or_b32 v4, 0xffffff1f, v4, 32
	s_mov_b32 s10, s8
	s_mov_b32 s11, s8
	;; [unrolled: 1-line block ×3, first 2 shown]
	v_mov_b64_e32 v[16:17], s[10:11]
	v_add_nc_u64_e32 v[10:11], v[10:11], v[2:3]
	v_mov_b64_e32 v[14:15], s[8:9]
	v_dual_mov_b32 v6, 3 :: v_dual_mov_b32 v7, v1
	s_delay_alu instid0(VALU_DEP_3) | instskip(NEXT) | instid1(VALU_DEP_4)
	v_readfirstlane_b32 s12, v10
	v_readfirstlane_b32 s13, v11
	s_clause 0x3
	global_store_b128 v0, v[4:7], s[12:13]
	global_store_b128 v0, v[14:17], s[12:13] offset:16
	global_store_b128 v0, v[14:17], s[12:13] offset:32
	;; [unrolled: 1-line block ×3, first 2 shown]
	s_wait_xcnt 0x0
	s_and_saveexec_b32 s8, s3
	s_cbranch_execz .LBB3_562
; %bb.555:
	v_dual_mov_b32 v14, 0 :: v_dual_mov_b32 v17, s7
	s_mov_b32 s9, exec_lo
	s_clause 0x1
	global_load_b64 v[18:19], v14, s[4:5] offset:32 scope:SCOPE_SYS
	global_load_b64 v[2:3], v14, s[4:5] offset:40
	s_wait_loadcnt 0x0
	v_dual_mov_b32 v16, s6 :: v_dual_bitop2_b32 v3, s7, v3 bitop3:0x40
	v_and_b32_e32 v2, s6, v2
	s_delay_alu instid0(VALU_DEP_1) | instskip(NEXT) | instid1(VALU_DEP_1)
	v_mul_u64_e32 v[2:3], 24, v[2:3]
	v_add_nc_u64_e32 v[6:7], v[8:9], v[2:3]
	global_store_b64 v[6:7], v[18:19], off
	global_wb scope:SCOPE_SYS
	s_wait_storecnt 0x0
	s_wait_xcnt 0x0
	global_atomic_cmpswap_b64 v[4:5], v14, v[16:19], s[4:5] offset:32 th:TH_ATOMIC_RETURN scope:SCOPE_SYS
	s_wait_loadcnt 0x0
	v_cmpx_ne_u64_e64 v[4:5], v[18:19]
	s_cbranch_execz .LBB3_558
; %bb.556:
	s_mov_b32 s10, 0
.LBB3_557:                              ; =>This Inner Loop Header: Depth=1
	v_dual_mov_b32 v2, s6 :: v_dual_mov_b32 v3, s7
	s_sleep 1
	global_store_b64 v[6:7], v[4:5], off
	global_wb scope:SCOPE_SYS
	s_wait_storecnt 0x0
	s_wait_xcnt 0x0
	global_atomic_cmpswap_b64 v[2:3], v14, v[2:5], s[4:5] offset:32 th:TH_ATOMIC_RETURN scope:SCOPE_SYS
	s_wait_loadcnt 0x0
	v_cmp_eq_u64_e32 vcc_lo, v[2:3], v[4:5]
	v_mov_b64_e32 v[4:5], v[2:3]
	s_or_b32 s10, vcc_lo, s10
	s_delay_alu instid0(SALU_CYCLE_1)
	s_and_not1_b32 exec_lo, exec_lo, s10
	s_cbranch_execnz .LBB3_557
.LBB3_558:
	s_or_b32 exec_lo, exec_lo, s9
	v_mov_b32_e32 v5, 0
	s_mov_b32 s10, exec_lo
	s_mov_b32 s9, exec_lo
	v_mbcnt_lo_u32_b32 v4, s10, 0
	global_load_b64 v[2:3], v5, s[4:5] offset:16
	s_wait_xcnt 0x0
	v_cmpx_eq_u32_e32 0, v4
	s_cbranch_execz .LBB3_560
; %bb.559:
	s_bcnt1_i32_b32 s10, s10
	s_delay_alu instid0(SALU_CYCLE_1)
	v_mov_b32_e32 v4, s10
	global_wb scope:SCOPE_SYS
	s_wait_loadcnt 0x0
	s_wait_storecnt 0x0
	global_atomic_add_u64 v[2:3], v[4:5], off offset:8 scope:SCOPE_SYS
.LBB3_560:
	s_wait_xcnt 0x0
	s_or_b32 exec_lo, exec_lo, s9
	s_wait_loadcnt 0x0
	global_load_b64 v[4:5], v[2:3], off offset:16
	s_wait_loadcnt 0x0
	v_cmp_eq_u64_e32 vcc_lo, 0, v[4:5]
	s_cbranch_vccnz .LBB3_562
; %bb.561:
	global_load_b32 v2, v[2:3], off offset:24
	s_wait_xcnt 0x0
	v_mov_b32_e32 v3, 0
	s_wait_loadcnt 0x0
	v_readfirstlane_b32 s9, v2
	global_wb scope:SCOPE_SYS
	s_wait_storecnt 0x0
	global_store_b64 v[4:5], v[2:3], off scope:SCOPE_SYS
	s_and_b32 m0, s9, 0xffffff
	s_sendmsg sendmsg(MSG_INTERRUPT)
.LBB3_562:
	s_wait_xcnt 0x0
	s_or_b32 exec_lo, exec_lo, s8
	v_add_nc_u64_e32 v[2:3], v[10:11], v[0:1]
	s_branch .LBB3_566
.LBB3_563:                              ;   in Loop: Header=BB3_566 Depth=1
	s_wait_xcnt 0x0
	s_or_b32 exec_lo, exec_lo, s8
	s_delay_alu instid0(VALU_DEP_1)
	v_readfirstlane_b32 s8, v1
	s_cmp_eq_u32 s8, 0
	s_cbranch_scc1 .LBB3_565
; %bb.564:                              ;   in Loop: Header=BB3_566 Depth=1
	s_sleep 1
	s_cbranch_execnz .LBB3_566
	s_branch .LBB3_568
.LBB3_565:
	s_branch .LBB3_568
.LBB3_566:                              ; =>This Inner Loop Header: Depth=1
	v_mov_b32_e32 v1, 1
	s_and_saveexec_b32 s8, s3
	s_cbranch_execz .LBB3_563
; %bb.567:                              ;   in Loop: Header=BB3_566 Depth=1
	global_load_b32 v1, v[12:13], off offset:20 scope:SCOPE_SYS
	s_wait_loadcnt 0x0
	global_inv scope:SCOPE_SYS
	v_and_b32_e32 v1, 1, v1
	s_branch .LBB3_563
.LBB3_568:
	global_load_b64 v[2:3], v[2:3], off
	s_wait_xcnt 0x0
	s_and_saveexec_b32 s8, s3
	s_cbranch_execz .LBB3_572
; %bb.569:
	v_mov_b32_e32 v1, 0
	s_clause 0x2
	global_load_b64 v[4:5], v1, s[4:5] offset:40
	global_load_b64 v[12:13], v1, s[4:5] offset:24 scope:SCOPE_SYS
	global_load_b64 v[6:7], v1, s[4:5]
	s_wait_loadcnt 0x2
	v_readfirstlane_b32 s10, v4
	v_readfirstlane_b32 s11, v5
	s_add_nc_u64 s[12:13], s[10:11], 1
	s_delay_alu instid0(SALU_CYCLE_1) | instskip(NEXT) | instid1(SALU_CYCLE_1)
	s_add_nc_u64 s[6:7], s[12:13], s[6:7]
	s_cmp_eq_u64 s[6:7], 0
	s_cselect_b32 s7, s13, s7
	s_cselect_b32 s6, s12, s6
	v_mov_b32_e32 v11, s7
	s_and_b64 s[10:11], s[6:7], s[10:11]
	v_mov_b32_e32 v10, s6
	s_mul_u64 s[10:11], s[10:11], 24
	s_wait_loadcnt 0x0
	v_add_nc_u64_e32 v[8:9], s[10:11], v[6:7]
	global_store_b64 v[8:9], v[12:13], off
	global_wb scope:SCOPE_SYS
	s_wait_storecnt 0x0
	s_wait_xcnt 0x0
	global_atomic_cmpswap_b64 v[6:7], v1, v[10:13], s[4:5] offset:24 th:TH_ATOMIC_RETURN scope:SCOPE_SYS
	s_wait_loadcnt 0x0
	v_cmp_ne_u64_e32 vcc_lo, v[6:7], v[12:13]
	s_and_b32 exec_lo, exec_lo, vcc_lo
	s_cbranch_execz .LBB3_572
; %bb.570:
	s_mov_b32 s3, 0
.LBB3_571:                              ; =>This Inner Loop Header: Depth=1
	v_dual_mov_b32 v4, s6 :: v_dual_mov_b32 v5, s7
	s_sleep 1
	global_store_b64 v[8:9], v[6:7], off
	global_wb scope:SCOPE_SYS
	s_wait_storecnt 0x0
	s_wait_xcnt 0x0
	global_atomic_cmpswap_b64 v[4:5], v1, v[4:7], s[4:5] offset:24 th:TH_ATOMIC_RETURN scope:SCOPE_SYS
	s_wait_loadcnt 0x0
	v_cmp_eq_u64_e32 vcc_lo, v[4:5], v[6:7]
	v_mov_b64_e32 v[6:7], v[4:5]
	s_or_b32 s3, vcc_lo, s3
	s_delay_alu instid0(SALU_CYCLE_1)
	s_and_not1_b32 exec_lo, exec_lo, s3
	s_cbranch_execnz .LBB3_571
.LBB3_572:
	s_or_b32 exec_lo, exec_lo, s8
	v_readfirstlane_b32 s3, v29
	v_mov_b64_e32 v[4:5], 0
	s_delay_alu instid0(VALU_DEP_2)
	v_cmp_eq_u32_e64 s3, s3, v29
	s_and_saveexec_b32 s6, s3
	s_cbranch_execz .LBB3_578
; %bb.573:
	v_mov_b32_e32 v1, 0
	s_mov_b32 s7, exec_lo
	global_load_b64 v[6:7], v1, s[4:5] offset:24 scope:SCOPE_SYS
	s_wait_loadcnt 0x0
	global_inv scope:SCOPE_SYS
	s_clause 0x1
	global_load_b64 v[4:5], v1, s[4:5] offset:40
	global_load_b64 v[8:9], v1, s[4:5]
	s_wait_loadcnt 0x1
	v_and_b32_e32 v4, v4, v6
	v_and_b32_e32 v5, v5, v7
	s_delay_alu instid0(VALU_DEP_1) | instskip(SKIP_1) | instid1(VALU_DEP_1)
	v_mul_u64_e32 v[4:5], 24, v[4:5]
	s_wait_loadcnt 0x0
	v_add_nc_u64_e32 v[4:5], v[8:9], v[4:5]
	global_load_b64 v[4:5], v[4:5], off scope:SCOPE_SYS
	s_wait_xcnt 0x0
	s_wait_loadcnt 0x0
	global_atomic_cmpswap_b64 v[4:5], v1, v[4:7], s[4:5] offset:24 th:TH_ATOMIC_RETURN scope:SCOPE_SYS
	s_wait_loadcnt 0x0
	global_inv scope:SCOPE_SYS
	s_wait_xcnt 0x0
	v_cmpx_ne_u64_e64 v[4:5], v[6:7]
	s_cbranch_execz .LBB3_577
; %bb.574:
	s_mov_b32 s8, 0
.LBB3_575:                              ; =>This Inner Loop Header: Depth=1
	s_sleep 1
	s_clause 0x1
	global_load_b64 v[8:9], v1, s[4:5] offset:40
	global_load_b64 v[10:11], v1, s[4:5]
	v_mov_b64_e32 v[6:7], v[4:5]
	s_wait_loadcnt 0x1
	s_delay_alu instid0(VALU_DEP_1) | instskip(NEXT) | instid1(VALU_DEP_2)
	v_and_b32_e32 v4, v8, v6
	v_and_b32_e32 v8, v9, v7
	s_wait_loadcnt 0x0
	s_delay_alu instid0(VALU_DEP_2) | instskip(NEXT) | instid1(VALU_DEP_1)
	v_mad_nc_u64_u32 v[4:5], v4, 24, v[10:11]
	v_mad_u32 v5, v8, 24, v5
	global_load_b64 v[4:5], v[4:5], off scope:SCOPE_SYS
	s_wait_xcnt 0x0
	s_wait_loadcnt 0x0
	global_atomic_cmpswap_b64 v[4:5], v1, v[4:7], s[4:5] offset:24 th:TH_ATOMIC_RETURN scope:SCOPE_SYS
	s_wait_loadcnt 0x0
	global_inv scope:SCOPE_SYS
	v_cmp_eq_u64_e32 vcc_lo, v[4:5], v[6:7]
	s_or_b32 s8, vcc_lo, s8
	s_wait_xcnt 0x0
	s_and_not1_b32 exec_lo, exec_lo, s8
	s_cbranch_execnz .LBB3_575
; %bb.576:
	s_or_b32 exec_lo, exec_lo, s8
.LBB3_577:
	s_delay_alu instid0(SALU_CYCLE_1)
	s_or_b32 exec_lo, exec_lo, s7
.LBB3_578:
	s_delay_alu instid0(SALU_CYCLE_1)
	s_or_b32 exec_lo, exec_lo, s6
	v_readfirstlane_b32 s6, v4
	v_mov_b32_e32 v1, 0
	v_readfirstlane_b32 s7, v5
	s_mov_b32 s8, exec_lo
	s_clause 0x1
	global_load_b64 v[10:11], v1, s[4:5] offset:40
	global_load_b128 v[6:9], v1, s[4:5]
	s_wait_loadcnt 0x1
	v_and_b32_e32 v4, s6, v10
	v_and_b32_e32 v5, s7, v11
	s_delay_alu instid0(VALU_DEP_1) | instskip(SKIP_1) | instid1(VALU_DEP_1)
	v_mul_u64_e32 v[10:11], 24, v[4:5]
	s_wait_loadcnt 0x0
	v_add_nc_u64_e32 v[10:11], v[6:7], v[10:11]
	s_wait_xcnt 0x0
	s_and_saveexec_b32 s9, s3
	s_cbranch_execz .LBB3_580
; %bb.579:
	v_mov_b64_e32 v[14:15], 0x100000002
	v_dual_mov_b32 v12, s8 :: v_dual_mov_b32 v13, v1
	global_store_b128 v[10:11], v[12:15], off offset:8
.LBB3_580:
	s_wait_xcnt 0x0
	s_or_b32 exec_lo, exec_lo, s9
	v_lshlrev_b64_e32 v[12:13], 12, v[4:5]
	s_mov_b32 s8, 0
	v_dual_cndmask_b32 v4, -1, v31, s2 :: v_dual_mov_b32 v5, v1
	s_mov_b32 s10, s8
	s_mov_b32 s11, s8
	;; [unrolled: 1-line block ×3, first 2 shown]
	s_delay_alu instid0(VALU_DEP_2) | instskip(SKIP_3) | instid1(VALU_DEP_4)
	v_add_nc_u64_e32 v[12:13], v[8:9], v[12:13]
	v_mov_b64_e32 v[16:17], s[10:11]
	v_mov_b64_e32 v[14:15], s[8:9]
	v_and_or_b32 v2, 0xffffff1f, v2, 32
	v_readfirstlane_b32 s12, v12
	v_readfirstlane_b32 s13, v13
	s_clause 0x3
	global_store_b128 v0, v[2:5], s[12:13]
	global_store_b128 v0, v[14:17], s[12:13] offset:16
	global_store_b128 v0, v[14:17], s[12:13] offset:32
	;; [unrolled: 1-line block ×3, first 2 shown]
	s_wait_xcnt 0x0
	s_and_saveexec_b32 s2, s3
	s_cbranch_execz .LBB3_588
; %bb.581:
	v_dual_mov_b32 v5, 0 :: v_dual_mov_b32 v15, s7
	s_mov_b32 s8, exec_lo
	s_clause 0x1
	global_load_b64 v[16:17], v5, s[4:5] offset:32 scope:SCOPE_SYS
	global_load_b64 v[2:3], v5, s[4:5] offset:40
	s_wait_loadcnt 0x0
	v_dual_mov_b32 v14, s6 :: v_dual_bitop2_b32 v3, s7, v3 bitop3:0x40
	v_and_b32_e32 v2, s6, v2
	s_delay_alu instid0(VALU_DEP_1) | instskip(NEXT) | instid1(VALU_DEP_1)
	v_mul_u64_e32 v[2:3], 24, v[2:3]
	v_add_nc_u64_e32 v[2:3], v[6:7], v[2:3]
	global_store_b64 v[2:3], v[16:17], off
	global_wb scope:SCOPE_SYS
	s_wait_storecnt 0x0
	s_wait_xcnt 0x0
	global_atomic_cmpswap_b64 v[8:9], v5, v[14:17], s[4:5] offset:32 th:TH_ATOMIC_RETURN scope:SCOPE_SYS
	s_wait_loadcnt 0x0
	v_cmpx_ne_u64_e64 v[8:9], v[16:17]
	s_cbranch_execz .LBB3_584
; %bb.582:
	s_mov_b32 s9, 0
.LBB3_583:                              ; =>This Inner Loop Header: Depth=1
	v_dual_mov_b32 v6, s6 :: v_dual_mov_b32 v7, s7
	s_sleep 1
	global_store_b64 v[2:3], v[8:9], off
	global_wb scope:SCOPE_SYS
	s_wait_storecnt 0x0
	s_wait_xcnt 0x0
	global_atomic_cmpswap_b64 v[6:7], v5, v[6:9], s[4:5] offset:32 th:TH_ATOMIC_RETURN scope:SCOPE_SYS
	s_wait_loadcnt 0x0
	v_cmp_eq_u64_e32 vcc_lo, v[6:7], v[8:9]
	v_mov_b64_e32 v[8:9], v[6:7]
	s_or_b32 s9, vcc_lo, s9
	s_delay_alu instid0(SALU_CYCLE_1)
	s_and_not1_b32 exec_lo, exec_lo, s9
	s_cbranch_execnz .LBB3_583
.LBB3_584:
	s_or_b32 exec_lo, exec_lo, s8
	v_mov_b32_e32 v7, 0
	s_mov_b32 s9, exec_lo
	s_mov_b32 s8, exec_lo
	v_mbcnt_lo_u32_b32 v5, s9, 0
	global_load_b64 v[2:3], v7, s[4:5] offset:16
	s_wait_xcnt 0x0
	v_cmpx_eq_u32_e32 0, v5
	s_cbranch_execz .LBB3_586
; %bb.585:
	s_bcnt1_i32_b32 s9, s9
	s_delay_alu instid0(SALU_CYCLE_1)
	v_mov_b32_e32 v6, s9
	global_wb scope:SCOPE_SYS
	s_wait_loadcnt 0x0
	s_wait_storecnt 0x0
	global_atomic_add_u64 v[2:3], v[6:7], off offset:8 scope:SCOPE_SYS
.LBB3_586:
	s_wait_xcnt 0x0
	s_or_b32 exec_lo, exec_lo, s8
	s_wait_loadcnt 0x0
	global_load_b64 v[6:7], v[2:3], off offset:16
	s_wait_loadcnt 0x0
	v_cmp_eq_u64_e32 vcc_lo, 0, v[6:7]
	s_cbranch_vccnz .LBB3_588
; %bb.587:
	global_load_b32 v2, v[2:3], off offset:24
	s_wait_xcnt 0x0
	v_mov_b32_e32 v3, 0
	s_wait_loadcnt 0x0
	v_readfirstlane_b32 s8, v2
	global_wb scope:SCOPE_SYS
	s_wait_storecnt 0x0
	global_store_b64 v[6:7], v[2:3], off scope:SCOPE_SYS
	s_and_b32 m0, s8, 0xffffff
	s_sendmsg sendmsg(MSG_INTERRUPT)
.LBB3_588:
	s_wait_xcnt 0x0
	s_or_b32 exec_lo, exec_lo, s2
	v_add_nc_u64_e32 v[2:3], v[12:13], v[0:1]
	s_branch .LBB3_592
.LBB3_589:                              ;   in Loop: Header=BB3_592 Depth=1
	s_wait_xcnt 0x0
	s_or_b32 exec_lo, exec_lo, s2
	s_delay_alu instid0(VALU_DEP_1)
	v_readfirstlane_b32 s2, v1
	s_cmp_eq_u32 s2, 0
	s_cbranch_scc1 .LBB3_591
; %bb.590:                              ;   in Loop: Header=BB3_592 Depth=1
	s_sleep 1
	s_cbranch_execnz .LBB3_592
	s_branch .LBB3_594
.LBB3_591:
	s_branch .LBB3_594
.LBB3_592:                              ; =>This Inner Loop Header: Depth=1
	v_mov_b32_e32 v1, 1
	s_and_saveexec_b32 s2, s3
	s_cbranch_execz .LBB3_589
; %bb.593:                              ;   in Loop: Header=BB3_592 Depth=1
	global_load_b32 v1, v[10:11], off offset:20 scope:SCOPE_SYS
	s_wait_loadcnt 0x0
	global_inv scope:SCOPE_SYS
	v_and_b32_e32 v1, 1, v1
	s_branch .LBB3_589
.LBB3_594:
	global_load_b64 v[6:7], v[2:3], off
	s_wait_xcnt 0x0
	s_and_saveexec_b32 s8, s3
	s_cbranch_execz .LBB3_598
; %bb.595:
	v_mov_b32_e32 v1, 0
	s_clause 0x2
	global_load_b64 v[2:3], v1, s[4:5] offset:40
	global_load_b64 v[12:13], v1, s[4:5] offset:24 scope:SCOPE_SYS
	global_load_b64 v[8:9], v1, s[4:5]
	s_wait_loadcnt 0x2
	v_readfirstlane_b32 s10, v2
	v_readfirstlane_b32 s11, v3
	s_add_nc_u64 s[2:3], s[10:11], 1
	s_delay_alu instid0(SALU_CYCLE_1) | instskip(NEXT) | instid1(SALU_CYCLE_1)
	s_add_nc_u64 s[6:7], s[2:3], s[6:7]
	s_cmp_eq_u64 s[6:7], 0
	s_cselect_b32 s3, s3, s7
	s_cselect_b32 s2, s2, s6
	v_mov_b32_e32 v11, s3
	s_and_b64 s[6:7], s[2:3], s[10:11]
	v_mov_b32_e32 v10, s2
	s_mul_u64 s[6:7], s[6:7], 24
	s_wait_loadcnt 0x0
	v_add_nc_u64_e32 v[2:3], s[6:7], v[8:9]
	global_store_b64 v[2:3], v[12:13], off
	global_wb scope:SCOPE_SYS
	s_wait_storecnt 0x0
	s_wait_xcnt 0x0
	global_atomic_cmpswap_b64 v[10:11], v1, v[10:13], s[4:5] offset:24 th:TH_ATOMIC_RETURN scope:SCOPE_SYS
	s_wait_loadcnt 0x0
	v_cmp_ne_u64_e32 vcc_lo, v[10:11], v[12:13]
	s_and_b32 exec_lo, exec_lo, vcc_lo
	s_cbranch_execz .LBB3_598
; %bb.596:
	s_mov_b32 s6, 0
.LBB3_597:                              ; =>This Inner Loop Header: Depth=1
	v_dual_mov_b32 v8, s2 :: v_dual_mov_b32 v9, s3
	s_sleep 1
	global_store_b64 v[2:3], v[10:11], off
	global_wb scope:SCOPE_SYS
	s_wait_storecnt 0x0
	s_wait_xcnt 0x0
	global_atomic_cmpswap_b64 v[8:9], v1, v[8:11], s[4:5] offset:24 th:TH_ATOMIC_RETURN scope:SCOPE_SYS
	s_wait_loadcnt 0x0
	v_cmp_eq_u64_e32 vcc_lo, v[8:9], v[10:11]
	v_mov_b64_e32 v[10:11], v[8:9]
	s_or_b32 s6, vcc_lo, s6
	s_delay_alu instid0(SALU_CYCLE_1)
	s_and_not1_b32 exec_lo, exec_lo, s6
	s_cbranch_execnz .LBB3_597
.LBB3_598:
	s_or_b32 exec_lo, exec_lo, s8
	v_readfirstlane_b32 s2, v29
	v_mov_b64_e32 v[2:3], 0
	s_delay_alu instid0(VALU_DEP_2)
	v_cmp_eq_u32_e64 s2, s2, v29
	s_and_saveexec_b32 s3, s2
	s_cbranch_execz .LBB3_604
; %bb.599:
	v_mov_b32_e32 v1, 0
	s_mov_b32 s6, exec_lo
	global_load_b64 v[10:11], v1, s[4:5] offset:24 scope:SCOPE_SYS
	s_wait_loadcnt 0x0
	global_inv scope:SCOPE_SYS
	s_clause 0x1
	global_load_b64 v[2:3], v1, s[4:5] offset:40
	global_load_b64 v[8:9], v1, s[4:5]
	s_wait_loadcnt 0x1
	v_and_b32_e32 v2, v2, v10
	v_and_b32_e32 v3, v3, v11
	s_delay_alu instid0(VALU_DEP_1) | instskip(SKIP_1) | instid1(VALU_DEP_1)
	v_mul_u64_e32 v[2:3], 24, v[2:3]
	s_wait_loadcnt 0x0
	v_add_nc_u64_e32 v[2:3], v[8:9], v[2:3]
	global_load_b64 v[8:9], v[2:3], off scope:SCOPE_SYS
	s_wait_xcnt 0x0
	s_wait_loadcnt 0x0
	global_atomic_cmpswap_b64 v[2:3], v1, v[8:11], s[4:5] offset:24 th:TH_ATOMIC_RETURN scope:SCOPE_SYS
	s_wait_loadcnt 0x0
	global_inv scope:SCOPE_SYS
	s_wait_xcnt 0x0
	v_cmpx_ne_u64_e64 v[2:3], v[10:11]
	s_cbranch_execz .LBB3_603
; %bb.600:
	s_mov_b32 s7, 0
.LBB3_601:                              ; =>This Inner Loop Header: Depth=1
	s_sleep 1
	s_clause 0x1
	global_load_b64 v[8:9], v1, s[4:5] offset:40
	global_load_b64 v[12:13], v1, s[4:5]
	v_mov_b64_e32 v[10:11], v[2:3]
	s_wait_loadcnt 0x1
	s_delay_alu instid0(VALU_DEP_1) | instskip(NEXT) | instid1(VALU_DEP_2)
	v_and_b32_e32 v2, v8, v10
	v_and_b32_e32 v5, v9, v11
	s_wait_loadcnt 0x0
	s_delay_alu instid0(VALU_DEP_2) | instskip(NEXT) | instid1(VALU_DEP_1)
	v_mad_nc_u64_u32 v[2:3], v2, 24, v[12:13]
	v_mad_u32 v3, v5, 24, v3
	global_load_b64 v[8:9], v[2:3], off scope:SCOPE_SYS
	s_wait_xcnt 0x0
	s_wait_loadcnt 0x0
	global_atomic_cmpswap_b64 v[2:3], v1, v[8:11], s[4:5] offset:24 th:TH_ATOMIC_RETURN scope:SCOPE_SYS
	s_wait_loadcnt 0x0
	global_inv scope:SCOPE_SYS
	v_cmp_eq_u64_e32 vcc_lo, v[2:3], v[10:11]
	s_or_b32 s7, vcc_lo, s7
	s_wait_xcnt 0x0
	s_and_not1_b32 exec_lo, exec_lo, s7
	s_cbranch_execnz .LBB3_601
; %bb.602:
	s_or_b32 exec_lo, exec_lo, s7
.LBB3_603:
	s_delay_alu instid0(SALU_CYCLE_1)
	s_or_b32 exec_lo, exec_lo, s6
.LBB3_604:
	s_delay_alu instid0(SALU_CYCLE_1)
	s_or_b32 exec_lo, exec_lo, s3
	v_readfirstlane_b32 s6, v2
	v_mov_b32_e32 v1, 0
	v_readfirstlane_b32 s7, v3
	s_mov_b32 s3, exec_lo
	s_clause 0x1
	global_load_b64 v[8:9], v1, s[4:5] offset:40
	global_load_b128 v[10:13], v1, s[4:5]
	s_wait_loadcnt 0x1
	v_and_b32_e32 v8, s6, v8
	v_and_b32_e32 v9, s7, v9
	s_delay_alu instid0(VALU_DEP_1) | instskip(SKIP_1) | instid1(VALU_DEP_1)
	v_mul_u64_e32 v[2:3], 24, v[8:9]
	s_wait_loadcnt 0x0
	v_add_nc_u64_e32 v[2:3], v[10:11], v[2:3]
	s_wait_xcnt 0x0
	s_and_saveexec_b32 s8, s2
	s_cbranch_execz .LBB3_606
; %bb.605:
	v_mov_b64_e32 v[16:17], 0x100000002
	v_dual_mov_b32 v14, s3 :: v_dual_mov_b32 v15, v1
	global_store_b128 v[2:3], v[14:17], off offset:8
.LBB3_606:
	s_wait_xcnt 0x0
	s_or_b32 exec_lo, exec_lo, s8
	v_lshlrev_b64_e32 v[14:15], 12, v[8:9]
	s_mov_b32 s8, 0
	v_dual_mov_b32 v9, v1 :: v_dual_lshrrev_b32 v8, 2, v28
	s_mov_b32 s10, s8
	s_mov_b32 s11, s8
	;; [unrolled: 1-line block ×3, first 2 shown]
	s_delay_alu instid0(VALU_DEP_2) | instskip(SKIP_3) | instid1(VALU_DEP_4)
	v_add_nc_u64_e32 v[14:15], v[12:13], v[14:15]
	v_mov_b64_e32 v[18:19], s[10:11]
	v_mov_b64_e32 v[16:17], s[8:9]
	v_and_or_b32 v6, 0xffffff1f, v6, 32
	v_readfirstlane_b32 s12, v14
	v_readfirstlane_b32 s13, v15
	s_clause 0x3
	global_store_b128 v0, v[6:9], s[12:13]
	global_store_b128 v0, v[16:19], s[12:13] offset:16
	global_store_b128 v0, v[16:19], s[12:13] offset:32
	;; [unrolled: 1-line block ×3, first 2 shown]
	s_wait_xcnt 0x0
	s_and_saveexec_b32 s3, s2
	s_cbranch_execz .LBB3_614
; %bb.607:
	v_dual_mov_b32 v5, 0 :: v_dual_mov_b32 v17, s7
	s_mov_b32 s8, exec_lo
	s_clause 0x1
	global_load_b64 v[18:19], v5, s[4:5] offset:32 scope:SCOPE_SYS
	global_load_b64 v[6:7], v5, s[4:5] offset:40
	s_wait_loadcnt 0x0
	v_dual_mov_b32 v16, s6 :: v_dual_bitop2_b32 v7, s7, v7 bitop3:0x40
	v_and_b32_e32 v6, s6, v6
	s_delay_alu instid0(VALU_DEP_1) | instskip(NEXT) | instid1(VALU_DEP_1)
	v_mul_u64_e32 v[6:7], 24, v[6:7]
	v_add_nc_u64_e32 v[6:7], v[10:11], v[6:7]
	global_store_b64 v[6:7], v[18:19], off
	global_wb scope:SCOPE_SYS
	s_wait_storecnt 0x0
	s_wait_xcnt 0x0
	global_atomic_cmpswap_b64 v[12:13], v5, v[16:19], s[4:5] offset:32 th:TH_ATOMIC_RETURN scope:SCOPE_SYS
	s_wait_loadcnt 0x0
	v_cmpx_ne_u64_e64 v[12:13], v[18:19]
	s_cbranch_execz .LBB3_610
; %bb.608:
	s_mov_b32 s9, 0
.LBB3_609:                              ; =>This Inner Loop Header: Depth=1
	v_dual_mov_b32 v10, s6 :: v_dual_mov_b32 v11, s7
	s_sleep 1
	global_store_b64 v[6:7], v[12:13], off
	global_wb scope:SCOPE_SYS
	s_wait_storecnt 0x0
	s_wait_xcnt 0x0
	global_atomic_cmpswap_b64 v[10:11], v5, v[10:13], s[4:5] offset:32 th:TH_ATOMIC_RETURN scope:SCOPE_SYS
	s_wait_loadcnt 0x0
	v_cmp_eq_u64_e32 vcc_lo, v[10:11], v[12:13]
	v_mov_b64_e32 v[12:13], v[10:11]
	s_or_b32 s9, vcc_lo, s9
	s_delay_alu instid0(SALU_CYCLE_1)
	s_and_not1_b32 exec_lo, exec_lo, s9
	s_cbranch_execnz .LBB3_609
.LBB3_610:
	s_or_b32 exec_lo, exec_lo, s8
	v_mov_b32_e32 v11, 0
	s_mov_b32 s9, exec_lo
	s_mov_b32 s8, exec_lo
	v_mbcnt_lo_u32_b32 v5, s9, 0
	global_load_b64 v[6:7], v11, s[4:5] offset:16
	s_wait_xcnt 0x0
	v_cmpx_eq_u32_e32 0, v5
	s_cbranch_execz .LBB3_612
; %bb.611:
	s_bcnt1_i32_b32 s9, s9
	s_delay_alu instid0(SALU_CYCLE_1)
	v_mov_b32_e32 v10, s9
	global_wb scope:SCOPE_SYS
	s_wait_loadcnt 0x0
	s_wait_storecnt 0x0
	global_atomic_add_u64 v[6:7], v[10:11], off offset:8 scope:SCOPE_SYS
.LBB3_612:
	s_wait_xcnt 0x0
	s_or_b32 exec_lo, exec_lo, s8
	s_wait_loadcnt 0x0
	global_load_b64 v[10:11], v[6:7], off offset:16
	s_wait_loadcnt 0x0
	v_cmp_eq_u64_e32 vcc_lo, 0, v[10:11]
	s_cbranch_vccnz .LBB3_614
; %bb.613:
	global_load_b32 v6, v[6:7], off offset:24
	s_wait_xcnt 0x0
	v_mov_b32_e32 v7, 0
	s_wait_loadcnt 0x0
	v_readfirstlane_b32 s8, v6
	global_wb scope:SCOPE_SYS
	s_wait_storecnt 0x0
	global_store_b64 v[10:11], v[6:7], off scope:SCOPE_SYS
	s_and_b32 m0, s8, 0xffffff
	s_sendmsg sendmsg(MSG_INTERRUPT)
.LBB3_614:
	s_wait_xcnt 0x0
	s_or_b32 exec_lo, exec_lo, s3
	v_add_nc_u64_e32 v[6:7], v[14:15], v[0:1]
	s_branch .LBB3_618
.LBB3_615:                              ;   in Loop: Header=BB3_618 Depth=1
	s_wait_xcnt 0x0
	s_or_b32 exec_lo, exec_lo, s3
	s_delay_alu instid0(VALU_DEP_1)
	v_readfirstlane_b32 s3, v1
	s_cmp_eq_u32 s3, 0
	s_cbranch_scc1 .LBB3_617
; %bb.616:                              ;   in Loop: Header=BB3_618 Depth=1
	s_sleep 1
	s_cbranch_execnz .LBB3_618
	s_branch .LBB3_620
.LBB3_617:
	s_branch .LBB3_620
.LBB3_618:                              ; =>This Inner Loop Header: Depth=1
	v_mov_b32_e32 v1, 1
	s_and_saveexec_b32 s3, s2
	s_cbranch_execz .LBB3_615
; %bb.619:                              ;   in Loop: Header=BB3_618 Depth=1
	global_load_b32 v1, v[2:3], off offset:20 scope:SCOPE_SYS
	s_wait_loadcnt 0x0
	global_inv scope:SCOPE_SYS
	v_and_b32_e32 v1, 1, v1
	s_branch .LBB3_615
.LBB3_620:
	global_load_b64 v[10:11], v[6:7], off
	s_wait_xcnt 0x0
	s_and_saveexec_b32 s8, s2
	s_cbranch_execz .LBB3_624
; %bb.621:
	v_mov_b32_e32 v1, 0
	s_clause 0x2
	global_load_b64 v[2:3], v1, s[4:5] offset:40
	global_load_b64 v[16:17], v1, s[4:5] offset:24 scope:SCOPE_SYS
	global_load_b64 v[6:7], v1, s[4:5]
	s_wait_loadcnt 0x2
	v_readfirstlane_b32 s10, v2
	v_readfirstlane_b32 s11, v3
	s_add_nc_u64 s[2:3], s[10:11], 1
	s_delay_alu instid0(SALU_CYCLE_1) | instskip(NEXT) | instid1(SALU_CYCLE_1)
	s_add_nc_u64 s[6:7], s[2:3], s[6:7]
	s_cmp_eq_u64 s[6:7], 0
	s_cselect_b32 s3, s3, s7
	s_cselect_b32 s2, s2, s6
	v_mov_b32_e32 v15, s3
	s_and_b64 s[6:7], s[2:3], s[10:11]
	v_mov_b32_e32 v14, s2
	s_mul_u64 s[6:7], s[6:7], 24
	s_wait_loadcnt 0x0
	v_add_nc_u64_e32 v[2:3], s[6:7], v[6:7]
	global_store_b64 v[2:3], v[16:17], off
	global_wb scope:SCOPE_SYS
	s_wait_storecnt 0x0
	s_wait_xcnt 0x0
	global_atomic_cmpswap_b64 v[14:15], v1, v[14:17], s[4:5] offset:24 th:TH_ATOMIC_RETURN scope:SCOPE_SYS
	s_wait_loadcnt 0x0
	v_cmp_ne_u64_e32 vcc_lo, v[14:15], v[16:17]
	s_and_b32 exec_lo, exec_lo, vcc_lo
	s_cbranch_execz .LBB3_624
; %bb.622:
	s_mov_b32 s6, 0
.LBB3_623:                              ; =>This Inner Loop Header: Depth=1
	v_dual_mov_b32 v12, s2 :: v_dual_mov_b32 v13, s3
	s_sleep 1
	global_store_b64 v[2:3], v[14:15], off
	global_wb scope:SCOPE_SYS
	s_wait_storecnt 0x0
	s_wait_xcnt 0x0
	global_atomic_cmpswap_b64 v[6:7], v1, v[12:15], s[4:5] offset:24 th:TH_ATOMIC_RETURN scope:SCOPE_SYS
	s_wait_loadcnt 0x0
	v_cmp_eq_u64_e32 vcc_lo, v[6:7], v[14:15]
	v_mov_b64_e32 v[14:15], v[6:7]
	s_or_b32 s6, vcc_lo, s6
	s_delay_alu instid0(SALU_CYCLE_1)
	s_and_not1_b32 exec_lo, exec_lo, s6
	s_cbranch_execnz .LBB3_623
.LBB3_624:
	s_or_b32 exec_lo, exec_lo, s8
	v_readfirstlane_b32 s2, v29
	v_mov_b64_e32 v[2:3], 0
	s_delay_alu instid0(VALU_DEP_2)
	v_cmp_eq_u32_e64 s2, s2, v29
	s_and_saveexec_b32 s3, s2
	s_cbranch_execz .LBB3_630
; %bb.625:
	v_mov_b32_e32 v1, 0
	s_mov_b32 s6, exec_lo
	global_load_b64 v[14:15], v1, s[4:5] offset:24 scope:SCOPE_SYS
	s_wait_loadcnt 0x0
	global_inv scope:SCOPE_SYS
	s_clause 0x1
	global_load_b64 v[2:3], v1, s[4:5] offset:40
	global_load_b64 v[6:7], v1, s[4:5]
	s_wait_loadcnt 0x1
	v_and_b32_e32 v2, v2, v14
	v_and_b32_e32 v3, v3, v15
	s_delay_alu instid0(VALU_DEP_1) | instskip(SKIP_1) | instid1(VALU_DEP_1)
	v_mul_u64_e32 v[2:3], 24, v[2:3]
	s_wait_loadcnt 0x0
	v_add_nc_u64_e32 v[2:3], v[6:7], v[2:3]
	global_load_b64 v[12:13], v[2:3], off scope:SCOPE_SYS
	s_wait_xcnt 0x0
	s_wait_loadcnt 0x0
	global_atomic_cmpswap_b64 v[2:3], v1, v[12:15], s[4:5] offset:24 th:TH_ATOMIC_RETURN scope:SCOPE_SYS
	s_wait_loadcnt 0x0
	global_inv scope:SCOPE_SYS
	s_wait_xcnt 0x0
	v_cmpx_ne_u64_e64 v[2:3], v[14:15]
	s_cbranch_execz .LBB3_629
; %bb.626:
	s_mov_b32 s7, 0
.LBB3_627:                              ; =>This Inner Loop Header: Depth=1
	s_sleep 1
	s_clause 0x1
	global_load_b64 v[6:7], v1, s[4:5] offset:40
	global_load_b64 v[12:13], v1, s[4:5]
	v_mov_b64_e32 v[14:15], v[2:3]
	s_wait_loadcnt 0x1
	s_delay_alu instid0(VALU_DEP_1) | instskip(NEXT) | instid1(VALU_DEP_2)
	v_and_b32_e32 v2, v6, v14
	v_and_b32_e32 v5, v7, v15
	s_wait_loadcnt 0x0
	s_delay_alu instid0(VALU_DEP_2) | instskip(NEXT) | instid1(VALU_DEP_1)
	v_mad_nc_u64_u32 v[2:3], v2, 24, v[12:13]
	v_mad_u32 v3, v5, 24, v3
	global_load_b64 v[12:13], v[2:3], off scope:SCOPE_SYS
	s_wait_xcnt 0x0
	s_wait_loadcnt 0x0
	global_atomic_cmpswap_b64 v[2:3], v1, v[12:15], s[4:5] offset:24 th:TH_ATOMIC_RETURN scope:SCOPE_SYS
	s_wait_loadcnt 0x0
	global_inv scope:SCOPE_SYS
	v_cmp_eq_u64_e32 vcc_lo, v[2:3], v[14:15]
	s_or_b32 s7, vcc_lo, s7
	s_wait_xcnt 0x0
	s_and_not1_b32 exec_lo, exec_lo, s7
	s_cbranch_execnz .LBB3_627
; %bb.628:
	s_or_b32 exec_lo, exec_lo, s7
.LBB3_629:
	s_delay_alu instid0(SALU_CYCLE_1)
	s_or_b32 exec_lo, exec_lo, s6
.LBB3_630:
	s_delay_alu instid0(SALU_CYCLE_1)
	s_or_b32 exec_lo, exec_lo, s3
	v_readfirstlane_b32 s6, v2
	v_mov_b32_e32 v13, 0
	v_readfirstlane_b32 s7, v3
	s_mov_b32 s3, exec_lo
	s_clause 0x1
	global_load_b64 v[6:7], v13, s[4:5] offset:40
	global_load_b128 v[14:17], v13, s[4:5]
	s_wait_loadcnt 0x1
	v_and_b32_e32 v2, s6, v6
	v_and_b32_e32 v3, s7, v7
	s_delay_alu instid0(VALU_DEP_1) | instskip(SKIP_1) | instid1(VALU_DEP_1)
	v_mul_u64_e32 v[6:7], 24, v[2:3]
	s_wait_loadcnt 0x0
	v_add_nc_u64_e32 v[6:7], v[14:15], v[6:7]
	s_wait_xcnt 0x0
	s_and_saveexec_b32 s8, s2
	s_cbranch_execz .LBB3_632
; %bb.631:
	v_mov_b32_e32 v12, s3
	v_mov_b64_e32 v[20:21], 0x100000002
	s_delay_alu instid0(VALU_DEP_2)
	v_mov_b64_e32 v[18:19], v[12:13]
	global_store_b128 v[6:7], v[18:21], off offset:8
.LBB3_632:
	s_wait_xcnt 0x0
	s_or_b32 exec_lo, exec_lo, s8
	v_lshlrev_b64_e32 v[2:3], 12, v[2:3]
	s_mov_b32 s8, 0
	s_add_co_i32 s22, s22, 3
	s_mov_b32 s10, s8
	s_mov_b32 s11, s8
	;; [unrolled: 1-line block ×3, first 2 shown]
	s_lshr_b32 s3, s22, 2
	v_add_nc_u64_e32 v[2:3], v[16:17], v[2:3]
	v_mov_b64_e32 v[18:19], s[10:11]
	v_mov_b64_e32 v[16:17], s[8:9]
	v_and_or_b32 v10, 0xffffff1d, v10, 34
	v_mov_b32_e32 v12, s3
	v_readfirstlane_b32 s12, v2
	v_readfirstlane_b32 s13, v3
	s_clause 0x3
	global_store_b128 v0, v[10:13], s[12:13]
	global_store_b128 v0, v[16:19], s[12:13] offset:16
	global_store_b128 v0, v[16:19], s[12:13] offset:32
	;; [unrolled: 1-line block ×3, first 2 shown]
	s_wait_xcnt 0x0
	s_and_saveexec_b32 s3, s2
	s_cbranch_execz .LBB3_640
; %bb.633:
	v_mov_b32_e32 v5, 0
	s_mov_b32 s8, exec_lo
	s_clause 0x1
	global_load_b64 v[16:17], v5, s[4:5] offset:32 scope:SCOPE_SYS
	global_load_b64 v[0:1], v5, s[4:5] offset:40
	s_wait_loadcnt 0x0
	v_and_b32_e32 v0, s6, v0
	v_and_b32_e32 v1, s7, v1
	s_delay_alu instid0(VALU_DEP_1) | instskip(NEXT) | instid1(VALU_DEP_1)
	v_mul_u64_e32 v[0:1], 24, v[0:1]
	v_add_nc_u64_e32 v[10:11], v[14:15], v[0:1]
	v_dual_mov_b32 v14, s6 :: v_dual_mov_b32 v15, s7
	global_store_b64 v[10:11], v[16:17], off
	global_wb scope:SCOPE_SYS
	s_wait_storecnt 0x0
	s_wait_xcnt 0x0
	global_atomic_cmpswap_b64 v[2:3], v5, v[14:17], s[4:5] offset:32 th:TH_ATOMIC_RETURN scope:SCOPE_SYS
	s_wait_loadcnt 0x0
	v_cmpx_ne_u64_e64 v[2:3], v[16:17]
	s_cbranch_execz .LBB3_636
; %bb.634:
	s_mov_b32 s9, 0
.LBB3_635:                              ; =>This Inner Loop Header: Depth=1
	v_dual_mov_b32 v0, s6 :: v_dual_mov_b32 v1, s7
	s_sleep 1
	global_store_b64 v[10:11], v[2:3], off
	global_wb scope:SCOPE_SYS
	s_wait_storecnt 0x0
	s_wait_xcnt 0x0
	global_atomic_cmpswap_b64 v[0:1], v5, v[0:3], s[4:5] offset:32 th:TH_ATOMIC_RETURN scope:SCOPE_SYS
	s_wait_loadcnt 0x0
	v_cmp_eq_u64_e32 vcc_lo, v[0:1], v[2:3]
	v_mov_b64_e32 v[2:3], v[0:1]
	s_or_b32 s9, vcc_lo, s9
	s_delay_alu instid0(SALU_CYCLE_1)
	s_and_not1_b32 exec_lo, exec_lo, s9
	s_cbranch_execnz .LBB3_635
.LBB3_636:
	s_or_b32 exec_lo, exec_lo, s8
	v_mov_b32_e32 v3, 0
	s_mov_b32 s9, exec_lo
	s_mov_b32 s8, exec_lo
	v_mbcnt_lo_u32_b32 v2, s9, 0
	global_load_b64 v[0:1], v3, s[4:5] offset:16
	s_wait_xcnt 0x0
	v_cmpx_eq_u32_e32 0, v2
	s_cbranch_execz .LBB3_638
; %bb.637:
	s_bcnt1_i32_b32 s9, s9
	s_delay_alu instid0(SALU_CYCLE_1)
	v_mov_b32_e32 v2, s9
	global_wb scope:SCOPE_SYS
	s_wait_loadcnt 0x0
	s_wait_storecnt 0x0
	global_atomic_add_u64 v[0:1], v[2:3], off offset:8 scope:SCOPE_SYS
.LBB3_638:
	s_wait_xcnt 0x0
	s_or_b32 exec_lo, exec_lo, s8
	s_wait_loadcnt 0x0
	global_load_b64 v[2:3], v[0:1], off offset:16
	s_wait_loadcnt 0x0
	v_cmp_eq_u64_e32 vcc_lo, 0, v[2:3]
	s_cbranch_vccnz .LBB3_640
; %bb.639:
	global_load_b32 v0, v[0:1], off offset:24
	s_wait_xcnt 0x0
	v_mov_b32_e32 v1, 0
	s_wait_loadcnt 0x0
	v_readfirstlane_b32 s8, v0
	global_wb scope:SCOPE_SYS
	s_wait_storecnt 0x0
	global_store_b64 v[2:3], v[0:1], off scope:SCOPE_SYS
	s_and_b32 m0, s8, 0xffffff
	s_sendmsg sendmsg(MSG_INTERRUPT)
.LBB3_640:
	s_wait_xcnt 0x0
	s_or_b32 exec_lo, exec_lo, s3
	s_branch .LBB3_644
.LBB3_641:                              ;   in Loop: Header=BB3_644 Depth=1
	s_wait_xcnt 0x0
	s_or_b32 exec_lo, exec_lo, s3
	s_delay_alu instid0(VALU_DEP_1)
	v_readfirstlane_b32 s3, v0
	s_cmp_eq_u32 s3, 0
	s_cbranch_scc1 .LBB3_643
; %bb.642:                              ;   in Loop: Header=BB3_644 Depth=1
	s_sleep 1
	s_cbranch_execnz .LBB3_644
	s_branch .LBB3_646
.LBB3_643:
	s_branch .LBB3_646
.LBB3_644:                              ; =>This Inner Loop Header: Depth=1
	v_mov_b32_e32 v0, 1
	s_and_saveexec_b32 s3, s2
	s_cbranch_execz .LBB3_641
; %bb.645:                              ;   in Loop: Header=BB3_644 Depth=1
	global_load_b32 v0, v[6:7], off offset:20 scope:SCOPE_SYS
	s_wait_loadcnt 0x0
	global_inv scope:SCOPE_SYS
	v_and_b32_e32 v0, 1, v0
	s_branch .LBB3_641
.LBB3_646:
	s_and_saveexec_b32 s8, s2
	s_cbranch_execz .LBB3_650
; %bb.647:
	v_mov_b32_e32 v5, 0
	s_clause 0x2
	global_load_b64 v[0:1], v5, s[4:5] offset:40
	global_load_b64 v[12:13], v5, s[4:5] offset:24 scope:SCOPE_SYS
	global_load_b64 v[2:3], v5, s[4:5]
	s_wait_loadcnt 0x2
	v_readfirstlane_b32 s10, v0
	v_readfirstlane_b32 s11, v1
	s_add_nc_u64 s[2:3], s[10:11], 1
	s_delay_alu instid0(SALU_CYCLE_1) | instskip(NEXT) | instid1(SALU_CYCLE_1)
	s_add_nc_u64 s[6:7], s[2:3], s[6:7]
	s_cmp_eq_u64 s[6:7], 0
	s_cselect_b32 s3, s3, s7
	s_cselect_b32 s2, s2, s6
	v_mov_b32_e32 v11, s3
	s_and_b64 s[6:7], s[2:3], s[10:11]
	v_mov_b32_e32 v10, s2
	s_mul_u64 s[6:7], s[6:7], 24
	s_wait_loadcnt 0x0
	v_add_nc_u64_e32 v[6:7], s[6:7], v[2:3]
	global_store_b64 v[6:7], v[12:13], off
	global_wb scope:SCOPE_SYS
	s_wait_storecnt 0x0
	s_wait_xcnt 0x0
	global_atomic_cmpswap_b64 v[2:3], v5, v[10:13], s[4:5] offset:24 th:TH_ATOMIC_RETURN scope:SCOPE_SYS
	s_wait_loadcnt 0x0
	v_cmp_ne_u64_e32 vcc_lo, v[2:3], v[12:13]
	s_and_b32 exec_lo, exec_lo, vcc_lo
	s_cbranch_execz .LBB3_650
; %bb.648:
	s_mov_b32 s6, 0
.LBB3_649:                              ; =>This Inner Loop Header: Depth=1
	v_dual_mov_b32 v0, s2 :: v_dual_mov_b32 v1, s3
	s_sleep 1
	global_store_b64 v[6:7], v[2:3], off
	global_wb scope:SCOPE_SYS
	s_wait_storecnt 0x0
	s_wait_xcnt 0x0
	global_atomic_cmpswap_b64 v[0:1], v5, v[0:3], s[4:5] offset:24 th:TH_ATOMIC_RETURN scope:SCOPE_SYS
	s_wait_loadcnt 0x0
	v_cmp_eq_u64_e32 vcc_lo, v[0:1], v[2:3]
	v_mov_b64_e32 v[2:3], v[0:1]
	s_or_b32 s6, vcc_lo, s6
	s_delay_alu instid0(SALU_CYCLE_1)
	s_and_not1_b32 exec_lo, exec_lo, s6
	s_cbranch_execnz .LBB3_649
.LBB3_650:
	s_or_b32 exec_lo, exec_lo, s8
	s_load_b64 s[0:1], s[0:1], 0x0
	s_wait_kmcnt 0x0
	global_store_b32 v8, v4, s[0:1] scale_offset
	s_endpgm
	.section	.rodata,"a",@progbits
	.p2align	6, 0x0
	.amdhsa_kernel _Z32kernel_cg_group_partition_staticILj4EEvPibS0_
		.amdhsa_group_segment_fixed_size 0
		.amdhsa_private_segment_fixed_size 0
		.amdhsa_kernarg_size 280
		.amdhsa_user_sgpr_count 2
		.amdhsa_user_sgpr_dispatch_ptr 0
		.amdhsa_user_sgpr_queue_ptr 0
		.amdhsa_user_sgpr_kernarg_segment_ptr 1
		.amdhsa_user_sgpr_dispatch_id 0
		.amdhsa_user_sgpr_kernarg_preload_length 0
		.amdhsa_user_sgpr_kernarg_preload_offset 0
		.amdhsa_user_sgpr_private_segment_size 0
		.amdhsa_wavefront_size32 1
		.amdhsa_uses_dynamic_stack 0
		.amdhsa_enable_private_segment 0
		.amdhsa_system_sgpr_workgroup_id_x 1
		.amdhsa_system_sgpr_workgroup_id_y 0
		.amdhsa_system_sgpr_workgroup_id_z 0
		.amdhsa_system_sgpr_workgroup_info 0
		.amdhsa_system_vgpr_workitem_id 2
		.amdhsa_next_free_vgpr 36
		.amdhsa_next_free_sgpr 28
		.amdhsa_named_barrier_count 0
		.amdhsa_reserve_vcc 1
		.amdhsa_float_round_mode_32 0
		.amdhsa_float_round_mode_16_64 0
		.amdhsa_float_denorm_mode_32 3
		.amdhsa_float_denorm_mode_16_64 3
		.amdhsa_fp16_overflow 0
		.amdhsa_memory_ordered 1
		.amdhsa_forward_progress 1
		.amdhsa_inst_pref_size 231
		.amdhsa_round_robin_scheduling 0
		.amdhsa_exception_fp_ieee_invalid_op 0
		.amdhsa_exception_fp_denorm_src 0
		.amdhsa_exception_fp_ieee_div_zero 0
		.amdhsa_exception_fp_ieee_overflow 0
		.amdhsa_exception_fp_ieee_underflow 0
		.amdhsa_exception_fp_ieee_inexact 0
		.amdhsa_exception_int_div_zero 0
	.end_amdhsa_kernel
	.section	.text._Z32kernel_cg_group_partition_staticILj4EEvPibS0_,"axG",@progbits,_Z32kernel_cg_group_partition_staticILj4EEvPibS0_,comdat
.Lfunc_end3:
	.size	_Z32kernel_cg_group_partition_staticILj4EEvPibS0_, .Lfunc_end3-_Z32kernel_cg_group_partition_staticILj4EEvPibS0_
                                        ; -- End function
	.set _Z32kernel_cg_group_partition_staticILj4EEvPibS0_.num_vgpr, 36
	.set _Z32kernel_cg_group_partition_staticILj4EEvPibS0_.num_agpr, 0
	.set _Z32kernel_cg_group_partition_staticILj4EEvPibS0_.numbered_sgpr, 28
	.set _Z32kernel_cg_group_partition_staticILj4EEvPibS0_.num_named_barrier, 0
	.set _Z32kernel_cg_group_partition_staticILj4EEvPibS0_.private_seg_size, 0
	.set _Z32kernel_cg_group_partition_staticILj4EEvPibS0_.uses_vcc, 1
	.set _Z32kernel_cg_group_partition_staticILj4EEvPibS0_.uses_flat_scratch, 0
	.set _Z32kernel_cg_group_partition_staticILj4EEvPibS0_.has_dyn_sized_stack, 0
	.set _Z32kernel_cg_group_partition_staticILj4EEvPibS0_.has_recursion, 0
	.set _Z32kernel_cg_group_partition_staticILj4EEvPibS0_.has_indirect_call, 0
	.section	.AMDGPU.csdata,"",@progbits
; Kernel info:
; codeLenInByte = 29480
; TotalNumSgprs: 30
; NumVgprs: 36
; ScratchSize: 0
; MemoryBound: 0
; FloatMode: 240
; IeeeMode: 1
; LDSByteSize: 0 bytes/workgroup (compile time only)
; SGPRBlocks: 0
; VGPRBlocks: 2
; NumSGPRsForWavesPerEU: 30
; NumVGPRsForWavesPerEU: 36
; NamedBarCnt: 0
; Occupancy: 16
; WaveLimiterHint : 1
; COMPUTE_PGM_RSRC2:SCRATCH_EN: 0
; COMPUTE_PGM_RSRC2:USER_SGPR: 2
; COMPUTE_PGM_RSRC2:TRAP_HANDLER: 0
; COMPUTE_PGM_RSRC2:TGID_X_EN: 1
; COMPUTE_PGM_RSRC2:TGID_Y_EN: 0
; COMPUTE_PGM_RSRC2:TGID_Z_EN: 0
; COMPUTE_PGM_RSRC2:TIDIG_COMP_CNT: 2
	.section	.text._Z32kernel_cg_group_partition_staticILj8EEvPibS0_,"axG",@progbits,_Z32kernel_cg_group_partition_staticILj8EEvPibS0_,comdat
	.protected	_Z32kernel_cg_group_partition_staticILj8EEvPibS0_ ; -- Begin function _Z32kernel_cg_group_partition_staticILj8EEvPibS0_
	.globl	_Z32kernel_cg_group_partition_staticILj8EEvPibS0_
	.p2align	8
	.type	_Z32kernel_cg_group_partition_staticILj8EEvPibS0_,@function
_Z32kernel_cg_group_partition_staticILj8EEvPibS0_: ; @_Z32kernel_cg_group_partition_staticILj8EEvPibS0_
; %bb.0:
	s_mov_b64 s[2:3], src_shared_base
	s_clause 0x1
	s_load_b64 s[4:5], s[0:1], 0x24
	s_load_b32 s2, s[0:1], 0x8
	v_bfe_u32 v1, v0, 10, 10
	v_bfe_u32 v2, v0, 20, 10
	s_load_b64 s[6:7], s[0:1], 0x10
	v_and_b32_e32 v0, 0x3ff, v0
	s_wait_kmcnt 0x0
	s_lshr_b32 s8, s4, 16
	s_and_b32 s4, s4, 0xffff
	v_mad_u32_u24 v1, v2, s8, v1
	s_and_b32 s2, 1, s2
	s_and_b32 s5, s5, 0xffff
	s_cmp_lg_u32 0, -1
	s_mul_i32 s22, s8, s4
	v_mad_u32 v28, v1, s4, v0
	s_cselect_b32 s9, 0, 0
	s_cselect_b32 s3, s3, 0
	s_cmp_eq_u32 s2, 1
	s_mul_i32 s22, s22, s5
	s_cselect_b32 s7, s7, s3
	s_cselect_b32 s6, s6, s9
	s_cmp_lt_u32 s22, 2
	s_mov_b32 s3, 0
	s_delay_alu instid0(VALU_DEP_1)
	v_mov_b32_e32 v31, v28
	s_cbranch_scc1 .LBB4_6
; %bb.1:
	v_dual_ashrrev_i32 v29, 31, v28 :: v_dual_mov_b32 v31, v28
	s_mov_b32 s4, s22
	s_delay_alu instid0(VALU_DEP_1)
	v_lshl_add_u64 v[0:1], v[28:29], 2, s[6:7]
.LBB4_2:                                ; =>This Inner Loop Header: Depth=1
	s_lshr_b32 s2, s4, 1
	s_mov_b32 s5, exec_lo
	flat_store_b32 v[0:1], v31
	s_wait_storecnt_dscnt 0x0
	s_barrier_signal -1
	s_barrier_wait -1
	s_wait_xcnt 0x0
	v_cmpx_gt_i32_e64 s2, v28
	s_cbranch_execz .LBB4_4
; %bb.3:                                ;   in Loop: Header=BB4_2 Depth=1
	v_lshl_add_u64 v[2:3], s[2:3], 2, v[0:1]
	flat_load_b32 v2, v[2:3]
	s_wait_loadcnt_dscnt 0x0
	v_add_nc_u32_e32 v31, v2, v31
.LBB4_4:                                ;   in Loop: Header=BB4_2 Depth=1
	s_or_b32 exec_lo, exec_lo, s5
	s_cmp_gt_u32 s4, 3
	s_barrier_signal -1
	s_barrier_wait -1
	s_cbranch_scc0 .LBB4_6
; %bb.5:                                ;   in Loop: Header=BB4_2 Depth=1
	s_mov_b32 s4, s2
	s_branch .LBB4_2
.LBB4_6:
	v_cmp_eq_u32_e64 s2, 0, v28
	s_add_nc_u64 s[4:5], s[0:1], 24
	s_and_saveexec_b32 s23, s2
	s_cbranch_execz .LBB4_403
; %bb.7:
	s_load_b64 s[8:9], s[4:5], 0x50
	v_mbcnt_lo_u32_b32 v29, -1, 0
	v_mov_b64_e32 v[2:3], 0
	s_delay_alu instid0(VALU_DEP_2) | instskip(NEXT) | instid1(VALU_DEP_1)
	v_readfirstlane_b32 s3, v29
	v_cmp_eq_u32_e64 s3, s3, v29
	s_and_saveexec_b32 s10, s3
	s_cbranch_execz .LBB4_13
; %bb.8:
	v_mov_b32_e32 v0, 0
	s_mov_b32 s11, exec_lo
	s_wait_kmcnt 0x0
	global_load_b64 v[4:5], v0, s[8:9] offset:24 scope:SCOPE_SYS
	s_wait_loadcnt 0x0
	global_inv scope:SCOPE_SYS
	s_clause 0x1
	global_load_b64 v[2:3], v0, s[8:9] offset:40
	global_load_b64 v[6:7], v0, s[8:9]
	s_wait_loadcnt 0x1
	v_and_b32_e32 v2, v2, v4
	v_and_b32_e32 v3, v3, v5
	s_delay_alu instid0(VALU_DEP_1) | instskip(SKIP_1) | instid1(VALU_DEP_1)
	v_mul_u64_e32 v[2:3], 24, v[2:3]
	s_wait_loadcnt 0x0
	v_add_nc_u64_e32 v[2:3], v[6:7], v[2:3]
	global_load_b64 v[2:3], v[2:3], off scope:SCOPE_SYS
	s_wait_xcnt 0x0
	s_wait_loadcnt 0x0
	global_atomic_cmpswap_b64 v[2:3], v0, v[2:5], s[8:9] offset:24 th:TH_ATOMIC_RETURN scope:SCOPE_SYS
	s_wait_loadcnt 0x0
	global_inv scope:SCOPE_SYS
	s_wait_xcnt 0x0
	v_cmpx_ne_u64_e64 v[2:3], v[4:5]
	s_cbranch_execz .LBB4_12
; %bb.9:
	s_mov_b32 s12, 0
.LBB4_10:                               ; =>This Inner Loop Header: Depth=1
	s_sleep 1
	s_clause 0x1
	global_load_b64 v[6:7], v0, s[8:9] offset:40
	global_load_b64 v[8:9], v0, s[8:9]
	v_mov_b64_e32 v[4:5], v[2:3]
	s_wait_loadcnt 0x1
	s_delay_alu instid0(VALU_DEP_1) | instskip(SKIP_1) | instid1(VALU_DEP_1)
	v_and_b32_e32 v1, v6, v4
	s_wait_loadcnt 0x0
	v_mad_nc_u64_u32 v[2:3], v1, 24, v[8:9]
	s_delay_alu instid0(VALU_DEP_3) | instskip(NEXT) | instid1(VALU_DEP_1)
	v_and_b32_e32 v1, v7, v5
	v_mad_u32 v3, v1, 24, v3
	global_load_b64 v[2:3], v[2:3], off scope:SCOPE_SYS
	s_wait_xcnt 0x0
	s_wait_loadcnt 0x0
	global_atomic_cmpswap_b64 v[2:3], v0, v[2:5], s[8:9] offset:24 th:TH_ATOMIC_RETURN scope:SCOPE_SYS
	s_wait_loadcnt 0x0
	global_inv scope:SCOPE_SYS
	v_cmp_eq_u64_e32 vcc_lo, v[2:3], v[4:5]
	s_or_b32 s12, vcc_lo, s12
	s_wait_xcnt 0x0
	s_and_not1_b32 exec_lo, exec_lo, s12
	s_cbranch_execnz .LBB4_10
; %bb.11:
	s_or_b32 exec_lo, exec_lo, s12
.LBB4_12:
	s_delay_alu instid0(SALU_CYCLE_1)
	s_or_b32 exec_lo, exec_lo, s11
.LBB4_13:
	s_delay_alu instid0(SALU_CYCLE_1)
	s_or_b32 exec_lo, exec_lo, s10
	v_readfirstlane_b32 s10, v2
	v_mov_b32_e32 v1, 0
	v_readfirstlane_b32 s11, v3
	s_mov_b32 s12, exec_lo
	s_wait_kmcnt 0x0
	s_clause 0x1
	global_load_b64 v[8:9], v1, s[8:9] offset:40
	global_load_b128 v[4:7], v1, s[8:9]
	s_wait_loadcnt 0x1
	v_and_b32_e32 v10, s10, v8
	v_and_b32_e32 v11, s11, v9
	s_delay_alu instid0(VALU_DEP_1) | instskip(SKIP_1) | instid1(VALU_DEP_1)
	v_mul_u64_e32 v[2:3], 24, v[10:11]
	s_wait_loadcnt 0x0
	v_add_nc_u64_e32 v[8:9], v[4:5], v[2:3]
	s_and_saveexec_b32 s13, s3
	s_cbranch_execz .LBB4_15
; %bb.14:
	v_mov_b64_e32 v[2:3], 0x100000002
	v_mov_b32_e32 v0, s12
	global_store_b128 v[8:9], v[0:3], off offset:8
.LBB4_15:
	s_wait_xcnt 0x0
	s_or_b32 exec_lo, exec_lo, s13
	v_lshlrev_b64_e32 v[2:3], 12, v[10:11]
	s_mov_b32 s12, 0
	v_dual_lshlrev_b32 v0, 6, v29 :: v_dual_mov_b32 v10, 33
	s_mov_b32 s14, s12
	s_mov_b32 s15, s12
	;; [unrolled: 1-line block ×3, first 2 shown]
	s_delay_alu instid0(VALU_DEP_2)
	v_add_nc_u64_e32 v[6:7], v[6:7], v[2:3]
	v_mov_b64_e32 v[16:17], s[14:15]
	v_mov_b64_e32 v[14:15], s[12:13]
	v_dual_mov_b32 v11, v1 :: v_dual_mov_b32 v12, v1
	v_mov_b32_e32 v13, v1
	v_readfirstlane_b32 s16, v6
	v_readfirstlane_b32 s17, v7
	s_clause 0x3
	global_store_b128 v0, v[10:13], s[16:17]
	global_store_b128 v0, v[14:17], s[16:17] offset:16
	global_store_b128 v0, v[14:17], s[16:17] offset:32
	;; [unrolled: 1-line block ×3, first 2 shown]
	s_wait_xcnt 0x0
	s_and_saveexec_b32 s12, s3
	s_cbranch_execz .LBB4_23
; %bb.16:
	v_dual_mov_b32 v12, 0 :: v_dual_mov_b32 v15, s11
	s_mov_b32 s13, exec_lo
	s_clause 0x1
	global_load_b64 v[16:17], v12, s[8:9] offset:32 scope:SCOPE_SYS
	global_load_b64 v[2:3], v12, s[8:9] offset:40
	s_wait_loadcnt 0x0
	v_dual_mov_b32 v14, s10 :: v_dual_bitop2_b32 v3, s11, v3 bitop3:0x40
	v_and_b32_e32 v2, s10, v2
	s_delay_alu instid0(VALU_DEP_1) | instskip(NEXT) | instid1(VALU_DEP_1)
	v_mul_u64_e32 v[2:3], 24, v[2:3]
	v_add_nc_u64_e32 v[10:11], v[4:5], v[2:3]
	global_store_b64 v[10:11], v[16:17], off
	global_wb scope:SCOPE_SYS
	s_wait_storecnt 0x0
	s_wait_xcnt 0x0
	global_atomic_cmpswap_b64 v[4:5], v12, v[14:17], s[8:9] offset:32 th:TH_ATOMIC_RETURN scope:SCOPE_SYS
	s_wait_loadcnt 0x0
	v_cmpx_ne_u64_e64 v[4:5], v[16:17]
	s_cbranch_execz .LBB4_19
; %bb.17:
	s_mov_b32 s14, 0
.LBB4_18:                               ; =>This Inner Loop Header: Depth=1
	v_dual_mov_b32 v2, s10 :: v_dual_mov_b32 v3, s11
	s_sleep 1
	global_store_b64 v[10:11], v[4:5], off
	global_wb scope:SCOPE_SYS
	s_wait_storecnt 0x0
	s_wait_xcnt 0x0
	global_atomic_cmpswap_b64 v[2:3], v12, v[2:5], s[8:9] offset:32 th:TH_ATOMIC_RETURN scope:SCOPE_SYS
	s_wait_loadcnt 0x0
	v_cmp_eq_u64_e32 vcc_lo, v[2:3], v[4:5]
	v_mov_b64_e32 v[4:5], v[2:3]
	s_or_b32 s14, vcc_lo, s14
	s_delay_alu instid0(SALU_CYCLE_1)
	s_and_not1_b32 exec_lo, exec_lo, s14
	s_cbranch_execnz .LBB4_18
.LBB4_19:
	s_or_b32 exec_lo, exec_lo, s13
	v_mov_b32_e32 v5, 0
	s_mov_b32 s14, exec_lo
	s_mov_b32 s13, exec_lo
	v_mbcnt_lo_u32_b32 v4, s14, 0
	global_load_b64 v[2:3], v5, s[8:9] offset:16
	s_wait_xcnt 0x0
	v_cmpx_eq_u32_e32 0, v4
	s_cbranch_execz .LBB4_21
; %bb.20:
	s_bcnt1_i32_b32 s14, s14
	s_delay_alu instid0(SALU_CYCLE_1)
	v_mov_b32_e32 v4, s14
	global_wb scope:SCOPE_SYS
	s_wait_loadcnt 0x0
	s_wait_storecnt 0x0
	global_atomic_add_u64 v[2:3], v[4:5], off offset:8 scope:SCOPE_SYS
.LBB4_21:
	s_wait_xcnt 0x0
	s_or_b32 exec_lo, exec_lo, s13
	s_wait_loadcnt 0x0
	global_load_b64 v[4:5], v[2:3], off offset:16
	s_wait_loadcnt 0x0
	v_cmp_eq_u64_e32 vcc_lo, 0, v[4:5]
	s_cbranch_vccnz .LBB4_23
; %bb.22:
	global_load_b32 v2, v[2:3], off offset:24
	s_wait_xcnt 0x0
	v_mov_b32_e32 v3, 0
	s_wait_loadcnt 0x0
	v_readfirstlane_b32 s13, v2
	global_wb scope:SCOPE_SYS
	s_wait_storecnt 0x0
	global_store_b64 v[4:5], v[2:3], off scope:SCOPE_SYS
	s_and_b32 m0, s13, 0xffffff
	s_sendmsg sendmsg(MSG_INTERRUPT)
.LBB4_23:
	s_wait_xcnt 0x0
	s_or_b32 exec_lo, exec_lo, s12
	v_add_nc_u64_e32 v[2:3], v[6:7], v[0:1]
	s_branch .LBB4_27
.LBB4_24:                               ;   in Loop: Header=BB4_27 Depth=1
	s_wait_xcnt 0x0
	s_or_b32 exec_lo, exec_lo, s12
	s_delay_alu instid0(VALU_DEP_1)
	v_readfirstlane_b32 s12, v1
	s_cmp_eq_u32 s12, 0
	s_cbranch_scc1 .LBB4_26
; %bb.25:                               ;   in Loop: Header=BB4_27 Depth=1
	s_sleep 1
	s_cbranch_execnz .LBB4_27
	s_branch .LBB4_29
.LBB4_26:
	s_branch .LBB4_29
.LBB4_27:                               ; =>This Inner Loop Header: Depth=1
	v_mov_b32_e32 v1, 1
	s_and_saveexec_b32 s12, s3
	s_cbranch_execz .LBB4_24
; %bb.28:                               ;   in Loop: Header=BB4_27 Depth=1
	global_load_b32 v1, v[8:9], off offset:20 scope:SCOPE_SYS
	s_wait_loadcnt 0x0
	global_inv scope:SCOPE_SYS
	v_and_b32_e32 v1, 1, v1
	s_branch .LBB4_24
.LBB4_29:
	global_load_b64 v[2:3], v[2:3], off
	s_wait_xcnt 0x0
	s_and_saveexec_b32 s12, s3
	s_cbranch_execz .LBB4_33
; %bb.30:
	v_mov_b32_e32 v1, 0
	s_clause 0x2
	global_load_b64 v[4:5], v1, s[8:9] offset:40
	global_load_b64 v[12:13], v1, s[8:9] offset:24 scope:SCOPE_SYS
	global_load_b64 v[6:7], v1, s[8:9]
	s_wait_loadcnt 0x2
	v_readfirstlane_b32 s14, v4
	v_readfirstlane_b32 s15, v5
	s_add_nc_u64 s[16:17], s[14:15], 1
	s_delay_alu instid0(SALU_CYCLE_1) | instskip(NEXT) | instid1(SALU_CYCLE_1)
	s_add_nc_u64 s[10:11], s[16:17], s[10:11]
	s_cmp_eq_u64 s[10:11], 0
	s_cselect_b32 s11, s17, s11
	s_cselect_b32 s10, s16, s10
	v_mov_b32_e32 v11, s11
	s_and_b64 s[14:15], s[10:11], s[14:15]
	v_mov_b32_e32 v10, s10
	s_mul_u64 s[14:15], s[14:15], 24
	s_wait_loadcnt 0x0
	v_add_nc_u64_e32 v[8:9], s[14:15], v[6:7]
	global_store_b64 v[8:9], v[12:13], off
	global_wb scope:SCOPE_SYS
	s_wait_storecnt 0x0
	s_wait_xcnt 0x0
	global_atomic_cmpswap_b64 v[6:7], v1, v[10:13], s[8:9] offset:24 th:TH_ATOMIC_RETURN scope:SCOPE_SYS
	s_wait_loadcnt 0x0
	v_cmp_ne_u64_e32 vcc_lo, v[6:7], v[12:13]
	s_and_b32 exec_lo, exec_lo, vcc_lo
	s_cbranch_execz .LBB4_33
; %bb.31:
	s_mov_b32 s3, 0
.LBB4_32:                               ; =>This Inner Loop Header: Depth=1
	v_dual_mov_b32 v4, s10 :: v_dual_mov_b32 v5, s11
	s_sleep 1
	global_store_b64 v[8:9], v[6:7], off
	global_wb scope:SCOPE_SYS
	s_wait_storecnt 0x0
	s_wait_xcnt 0x0
	global_atomic_cmpswap_b64 v[4:5], v1, v[4:7], s[8:9] offset:24 th:TH_ATOMIC_RETURN scope:SCOPE_SYS
	s_wait_loadcnt 0x0
	v_cmp_eq_u64_e32 vcc_lo, v[4:5], v[6:7]
	v_mov_b64_e32 v[6:7], v[4:5]
	s_or_b32 s3, vcc_lo, s3
	s_delay_alu instid0(SALU_CYCLE_1)
	s_and_not1_b32 exec_lo, exec_lo, s3
	s_cbranch_execnz .LBB4_32
.LBB4_33:
	s_or_b32 exec_lo, exec_lo, s12
	s_get_pc_i64 s[10:11]
	s_add_nc_u64 s[10:11], s[10:11], .str.8@rel64+4
	s_delay_alu instid0(SALU_CYCLE_1)
	s_cmp_lg_u64 s[10:11], 0
	s_cbranch_scc0 .LBB4_112
; %bb.34:
	v_mov_b64_e32 v[10:11], 0x100000002
	s_wait_loadcnt 0x0
	v_dual_mov_b32 v9, 0 :: v_dual_bitop2_b32 v30, 2, v2 bitop3:0x40
	v_dual_mov_b32 v5, v3 :: v_dual_bitop2_b32 v4, -3, v2 bitop3:0x40
	s_mov_b64 s[12:13], 0x4d
	s_branch .LBB4_36
.LBB4_35:                               ;   in Loop: Header=BB4_36 Depth=1
	s_or_b32 exec_lo, exec_lo, s18
	s_sub_nc_u64 s[12:13], s[12:13], s[14:15]
	s_add_nc_u64 s[10:11], s[10:11], s[14:15]
	s_cmp_lg_u64 s[12:13], 0
	s_cbranch_scc0 .LBB4_111
.LBB4_36:                               ; =>This Loop Header: Depth=1
                                        ;     Child Loop BB4_39 Depth 2
                                        ;     Child Loop BB4_46 Depth 2
	;; [unrolled: 1-line block ×11, first 2 shown]
	v_min_u64 v[6:7], s[12:13], 56
	v_cmp_gt_u64_e64 s3, s[12:13], 7
	s_and_b32 vcc_lo, exec_lo, s3
	v_readfirstlane_b32 s14, v6
	v_readfirstlane_b32 s15, v7
	s_cbranch_vccnz .LBB4_41
; %bb.37:                               ;   in Loop: Header=BB4_36 Depth=1
	v_mov_b64_e32 v[6:7], 0
	s_cmp_eq_u64 s[12:13], 0
	s_cbranch_scc1 .LBB4_40
; %bb.38:                               ;   in Loop: Header=BB4_36 Depth=1
	s_mov_b64 s[16:17], 0
	s_mov_b64 s[18:19], 0
.LBB4_39:                               ;   Parent Loop BB4_36 Depth=1
                                        ; =>  This Inner Loop Header: Depth=2
	s_wait_xcnt 0x0
	s_add_nc_u64 s[20:21], s[10:11], s[18:19]
	s_add_nc_u64 s[18:19], s[18:19], 1
	global_load_u8 v1, v9, s[20:21]
	s_cmp_lg_u32 s14, s18
	s_wait_loadcnt 0x0
	v_and_b32_e32 v8, 0xffff, v1
	s_delay_alu instid0(VALU_DEP_1) | instskip(SKIP_1) | instid1(VALU_DEP_1)
	v_lshlrev_b64_e32 v[12:13], s16, v[8:9]
	s_add_nc_u64 s[16:17], s[16:17], 8
	v_or_b32_e32 v6, v12, v6
	s_delay_alu instid0(VALU_DEP_2)
	v_or_b32_e32 v7, v13, v7
	s_cbranch_scc1 .LBB4_39
.LBB4_40:                               ;   in Loop: Header=BB4_36 Depth=1
	s_mov_b64 s[18:19], s[10:11]
	s_mov_b32 s3, 0
	s_cbranch_execz .LBB4_42
	s_branch .LBB4_43
.LBB4_41:                               ;   in Loop: Header=BB4_36 Depth=1
	s_add_nc_u64 s[18:19], s[10:11], 8
	s_mov_b32 s3, 0
.LBB4_42:                               ;   in Loop: Header=BB4_36 Depth=1
	global_load_b64 v[6:7], v9, s[10:11]
	s_add_co_i32 s3, s14, -8
.LBB4_43:                               ;   in Loop: Header=BB4_36 Depth=1
	s_delay_alu instid0(SALU_CYCLE_1)
	s_cmp_gt_u32 s3, 7
	s_cbranch_scc1 .LBB4_48
; %bb.44:                               ;   in Loop: Header=BB4_36 Depth=1
	v_mov_b64_e32 v[12:13], 0
	s_cmp_eq_u32 s3, 0
	s_cbranch_scc1 .LBB4_47
; %bb.45:                               ;   in Loop: Header=BB4_36 Depth=1
	s_mov_b64 s[16:17], 0
	s_wait_xcnt 0x0
	s_mov_b64 s[20:21], 0
.LBB4_46:                               ;   Parent Loop BB4_36 Depth=1
                                        ; =>  This Inner Loop Header: Depth=2
	s_wait_xcnt 0x0
	s_add_nc_u64 s[24:25], s[18:19], s[20:21]
	s_add_nc_u64 s[20:21], s[20:21], 1
	global_load_u8 v1, v9, s[24:25]
	s_cmp_lg_u32 s3, s20
	s_wait_loadcnt 0x0
	v_and_b32_e32 v8, 0xffff, v1
	s_delay_alu instid0(VALU_DEP_1) | instskip(SKIP_1) | instid1(VALU_DEP_1)
	v_lshlrev_b64_e32 v[14:15], s16, v[8:9]
	s_add_nc_u64 s[16:17], s[16:17], 8
	v_or_b32_e32 v12, v14, v12
	s_delay_alu instid0(VALU_DEP_2)
	v_or_b32_e32 v13, v15, v13
	s_cbranch_scc1 .LBB4_46
.LBB4_47:                               ;   in Loop: Header=BB4_36 Depth=1
	s_wait_xcnt 0x0
	s_mov_b64 s[16:17], s[18:19]
	s_mov_b32 s24, 0
	s_cbranch_execz .LBB4_49
	s_branch .LBB4_50
.LBB4_48:                               ;   in Loop: Header=BB4_36 Depth=1
	s_add_nc_u64 s[16:17], s[18:19], 8
	s_wait_xcnt 0x0
                                        ; implicit-def: $vgpr12_vgpr13
	s_mov_b32 s24, 0
.LBB4_49:                               ;   in Loop: Header=BB4_36 Depth=1
	global_load_b64 v[12:13], v9, s[18:19]
	s_add_co_i32 s24, s3, -8
.LBB4_50:                               ;   in Loop: Header=BB4_36 Depth=1
	s_delay_alu instid0(SALU_CYCLE_1)
	s_cmp_gt_u32 s24, 7
	s_cbranch_scc1 .LBB4_55
; %bb.51:                               ;   in Loop: Header=BB4_36 Depth=1
	v_mov_b64_e32 v[14:15], 0
	s_cmp_eq_u32 s24, 0
	s_cbranch_scc1 .LBB4_54
; %bb.52:                               ;   in Loop: Header=BB4_36 Depth=1
	s_wait_xcnt 0x0
	s_mov_b64 s[18:19], 0
	s_mov_b64 s[20:21], 0
.LBB4_53:                               ;   Parent Loop BB4_36 Depth=1
                                        ; =>  This Inner Loop Header: Depth=2
	s_wait_xcnt 0x0
	s_add_nc_u64 s[26:27], s[16:17], s[20:21]
	s_add_nc_u64 s[20:21], s[20:21], 1
	global_load_u8 v1, v9, s[26:27]
	s_cmp_lg_u32 s24, s20
	s_wait_loadcnt 0x0
	v_and_b32_e32 v8, 0xffff, v1
	s_delay_alu instid0(VALU_DEP_1) | instskip(SKIP_1) | instid1(VALU_DEP_1)
	v_lshlrev_b64_e32 v[16:17], s18, v[8:9]
	s_add_nc_u64 s[18:19], s[18:19], 8
	v_or_b32_e32 v14, v16, v14
	s_delay_alu instid0(VALU_DEP_2)
	v_or_b32_e32 v15, v17, v15
	s_cbranch_scc1 .LBB4_53
.LBB4_54:                               ;   in Loop: Header=BB4_36 Depth=1
	s_wait_xcnt 0x0
	s_mov_b64 s[18:19], s[16:17]
	s_mov_b32 s3, 0
	s_cbranch_execz .LBB4_56
	s_branch .LBB4_57
.LBB4_55:                               ;   in Loop: Header=BB4_36 Depth=1
	s_wait_xcnt 0x0
	s_add_nc_u64 s[18:19], s[16:17], 8
	s_mov_b32 s3, 0
.LBB4_56:                               ;   in Loop: Header=BB4_36 Depth=1
	global_load_b64 v[14:15], v9, s[16:17]
	s_add_co_i32 s3, s24, -8
.LBB4_57:                               ;   in Loop: Header=BB4_36 Depth=1
	s_delay_alu instid0(SALU_CYCLE_1)
	s_cmp_gt_u32 s3, 7
	s_cbranch_scc1 .LBB4_62
; %bb.58:                               ;   in Loop: Header=BB4_36 Depth=1
	v_mov_b64_e32 v[16:17], 0
	s_cmp_eq_u32 s3, 0
	s_cbranch_scc1 .LBB4_61
; %bb.59:                               ;   in Loop: Header=BB4_36 Depth=1
	s_wait_xcnt 0x0
	s_mov_b64 s[16:17], 0
	s_mov_b64 s[20:21], 0
.LBB4_60:                               ;   Parent Loop BB4_36 Depth=1
                                        ; =>  This Inner Loop Header: Depth=2
	s_wait_xcnt 0x0
	s_add_nc_u64 s[24:25], s[18:19], s[20:21]
	s_add_nc_u64 s[20:21], s[20:21], 1
	global_load_u8 v1, v9, s[24:25]
	s_cmp_lg_u32 s3, s20
	s_wait_loadcnt 0x0
	v_and_b32_e32 v8, 0xffff, v1
	s_delay_alu instid0(VALU_DEP_1) | instskip(SKIP_1) | instid1(VALU_DEP_1)
	v_lshlrev_b64_e32 v[18:19], s16, v[8:9]
	s_add_nc_u64 s[16:17], s[16:17], 8
	v_or_b32_e32 v16, v18, v16
	s_delay_alu instid0(VALU_DEP_2)
	v_or_b32_e32 v17, v19, v17
	s_cbranch_scc1 .LBB4_60
.LBB4_61:                               ;   in Loop: Header=BB4_36 Depth=1
	s_wait_xcnt 0x0
	s_mov_b64 s[16:17], s[18:19]
	s_mov_b32 s24, 0
	s_cbranch_execz .LBB4_63
	s_branch .LBB4_64
.LBB4_62:                               ;   in Loop: Header=BB4_36 Depth=1
	s_wait_xcnt 0x0
	s_add_nc_u64 s[16:17], s[18:19], 8
                                        ; implicit-def: $vgpr16_vgpr17
	s_mov_b32 s24, 0
.LBB4_63:                               ;   in Loop: Header=BB4_36 Depth=1
	global_load_b64 v[16:17], v9, s[18:19]
	s_add_co_i32 s24, s3, -8
.LBB4_64:                               ;   in Loop: Header=BB4_36 Depth=1
	s_delay_alu instid0(SALU_CYCLE_1)
	s_cmp_gt_u32 s24, 7
	s_cbranch_scc1 .LBB4_69
; %bb.65:                               ;   in Loop: Header=BB4_36 Depth=1
	v_mov_b64_e32 v[18:19], 0
	s_cmp_eq_u32 s24, 0
	s_cbranch_scc1 .LBB4_68
; %bb.66:                               ;   in Loop: Header=BB4_36 Depth=1
	s_wait_xcnt 0x0
	s_mov_b64 s[18:19], 0
	s_mov_b64 s[20:21], 0
.LBB4_67:                               ;   Parent Loop BB4_36 Depth=1
                                        ; =>  This Inner Loop Header: Depth=2
	s_wait_xcnt 0x0
	s_add_nc_u64 s[26:27], s[16:17], s[20:21]
	s_add_nc_u64 s[20:21], s[20:21], 1
	global_load_u8 v1, v9, s[26:27]
	s_cmp_lg_u32 s24, s20
	s_wait_loadcnt 0x0
	v_and_b32_e32 v8, 0xffff, v1
	s_delay_alu instid0(VALU_DEP_1) | instskip(SKIP_1) | instid1(VALU_DEP_1)
	v_lshlrev_b64_e32 v[20:21], s18, v[8:9]
	s_add_nc_u64 s[18:19], s[18:19], 8
	v_or_b32_e32 v18, v20, v18
	s_delay_alu instid0(VALU_DEP_2)
	v_or_b32_e32 v19, v21, v19
	s_cbranch_scc1 .LBB4_67
.LBB4_68:                               ;   in Loop: Header=BB4_36 Depth=1
	s_wait_xcnt 0x0
	s_mov_b64 s[18:19], s[16:17]
	s_mov_b32 s3, 0
	s_cbranch_execz .LBB4_70
	s_branch .LBB4_71
.LBB4_69:                               ;   in Loop: Header=BB4_36 Depth=1
	s_wait_xcnt 0x0
	s_add_nc_u64 s[18:19], s[16:17], 8
	s_mov_b32 s3, 0
.LBB4_70:                               ;   in Loop: Header=BB4_36 Depth=1
	global_load_b64 v[18:19], v9, s[16:17]
	s_add_co_i32 s3, s24, -8
.LBB4_71:                               ;   in Loop: Header=BB4_36 Depth=1
	s_delay_alu instid0(SALU_CYCLE_1)
	s_cmp_gt_u32 s3, 7
	s_cbranch_scc1 .LBB4_76
; %bb.72:                               ;   in Loop: Header=BB4_36 Depth=1
	v_mov_b64_e32 v[20:21], 0
	s_cmp_eq_u32 s3, 0
	s_cbranch_scc1 .LBB4_75
; %bb.73:                               ;   in Loop: Header=BB4_36 Depth=1
	s_wait_xcnt 0x0
	s_mov_b64 s[16:17], 0
	s_mov_b64 s[20:21], 0
.LBB4_74:                               ;   Parent Loop BB4_36 Depth=1
                                        ; =>  This Inner Loop Header: Depth=2
	s_wait_xcnt 0x0
	s_add_nc_u64 s[24:25], s[18:19], s[20:21]
	s_add_nc_u64 s[20:21], s[20:21], 1
	global_load_u8 v1, v9, s[24:25]
	s_cmp_lg_u32 s3, s20
	s_wait_loadcnt 0x0
	v_and_b32_e32 v8, 0xffff, v1
	s_delay_alu instid0(VALU_DEP_1) | instskip(SKIP_1) | instid1(VALU_DEP_1)
	v_lshlrev_b64_e32 v[22:23], s16, v[8:9]
	s_add_nc_u64 s[16:17], s[16:17], 8
	v_or_b32_e32 v20, v22, v20
	s_delay_alu instid0(VALU_DEP_2)
	v_or_b32_e32 v21, v23, v21
	s_cbranch_scc1 .LBB4_74
.LBB4_75:                               ;   in Loop: Header=BB4_36 Depth=1
	s_wait_xcnt 0x0
	s_mov_b64 s[16:17], s[18:19]
	s_mov_b32 s24, 0
	s_cbranch_execz .LBB4_77
	s_branch .LBB4_78
.LBB4_76:                               ;   in Loop: Header=BB4_36 Depth=1
	s_wait_xcnt 0x0
	s_add_nc_u64 s[16:17], s[18:19], 8
                                        ; implicit-def: $vgpr20_vgpr21
	s_mov_b32 s24, 0
.LBB4_77:                               ;   in Loop: Header=BB4_36 Depth=1
	global_load_b64 v[20:21], v9, s[18:19]
	s_add_co_i32 s24, s3, -8
.LBB4_78:                               ;   in Loop: Header=BB4_36 Depth=1
	s_delay_alu instid0(SALU_CYCLE_1)
	s_cmp_gt_u32 s24, 7
	s_cbranch_scc1 .LBB4_83
; %bb.79:                               ;   in Loop: Header=BB4_36 Depth=1
	v_mov_b64_e32 v[22:23], 0
	s_cmp_eq_u32 s24, 0
	s_cbranch_scc1 .LBB4_82
; %bb.80:                               ;   in Loop: Header=BB4_36 Depth=1
	s_wait_xcnt 0x0
	s_mov_b64 s[18:19], 0
	s_mov_b64 s[20:21], s[16:17]
.LBB4_81:                               ;   Parent Loop BB4_36 Depth=1
                                        ; =>  This Inner Loop Header: Depth=2
	global_load_u8 v1, v9, s[20:21]
	s_add_co_i32 s24, s24, -1
	s_wait_xcnt 0x0
	s_add_nc_u64 s[20:21], s[20:21], 1
	s_cmp_lg_u32 s24, 0
	s_wait_loadcnt 0x0
	v_and_b32_e32 v8, 0xffff, v1
	s_delay_alu instid0(VALU_DEP_1) | instskip(SKIP_1) | instid1(VALU_DEP_1)
	v_lshlrev_b64_e32 v[24:25], s18, v[8:9]
	s_add_nc_u64 s[18:19], s[18:19], 8
	v_or_b32_e32 v22, v24, v22
	s_delay_alu instid0(VALU_DEP_2)
	v_or_b32_e32 v23, v25, v23
	s_cbranch_scc1 .LBB4_81
.LBB4_82:                               ;   in Loop: Header=BB4_36 Depth=1
	s_cbranch_execz .LBB4_84
	s_branch .LBB4_85
.LBB4_83:                               ;   in Loop: Header=BB4_36 Depth=1
.LBB4_84:                               ;   in Loop: Header=BB4_36 Depth=1
	global_load_b64 v[22:23], v9, s[16:17]
.LBB4_85:                               ;   in Loop: Header=BB4_36 Depth=1
	v_readfirstlane_b32 s3, v29
	v_mov_b64_e32 v[32:33], 0
	s_delay_alu instid0(VALU_DEP_2)
	v_cmp_eq_u32_e64 s3, s3, v29
	s_wait_xcnt 0x0
	s_and_saveexec_b32 s16, s3
	s_cbranch_execz .LBB4_91
; %bb.86:                               ;   in Loop: Header=BB4_36 Depth=1
	global_load_b64 v[26:27], v9, s[8:9] offset:24 scope:SCOPE_SYS
	s_wait_loadcnt 0x0
	global_inv scope:SCOPE_SYS
	s_clause 0x1
	global_load_b64 v[24:25], v9, s[8:9] offset:40
	global_load_b64 v[32:33], v9, s[8:9]
	s_mov_b32 s17, exec_lo
	s_wait_loadcnt 0x1
	v_and_b32_e32 v24, v24, v26
	v_and_b32_e32 v25, v25, v27
	s_delay_alu instid0(VALU_DEP_1) | instskip(SKIP_1) | instid1(VALU_DEP_1)
	v_mul_u64_e32 v[24:25], 24, v[24:25]
	s_wait_loadcnt 0x0
	v_add_nc_u64_e32 v[24:25], v[32:33], v[24:25]
	global_load_b64 v[24:25], v[24:25], off scope:SCOPE_SYS
	s_wait_xcnt 0x0
	s_wait_loadcnt 0x0
	global_atomic_cmpswap_b64 v[32:33], v9, v[24:27], s[8:9] offset:24 th:TH_ATOMIC_RETURN scope:SCOPE_SYS
	s_wait_loadcnt 0x0
	global_inv scope:SCOPE_SYS
	s_wait_xcnt 0x0
	v_cmpx_ne_u64_e64 v[32:33], v[26:27]
	s_cbranch_execz .LBB4_90
; %bb.87:                               ;   in Loop: Header=BB4_36 Depth=1
	s_mov_b32 s18, 0
.LBB4_88:                               ;   Parent Loop BB4_36 Depth=1
                                        ; =>  This Inner Loop Header: Depth=2
	s_sleep 1
	s_clause 0x1
	global_load_b64 v[24:25], v9, s[8:9] offset:40
	global_load_b64 v[34:35], v9, s[8:9]
	v_mov_b64_e32 v[26:27], v[32:33]
	s_wait_loadcnt 0x1
	s_delay_alu instid0(VALU_DEP_1) | instskip(SKIP_1) | instid1(VALU_DEP_1)
	v_and_b32_e32 v1, v24, v26
	s_wait_loadcnt 0x0
	v_mad_nc_u64_u32 v[32:33], v1, 24, v[34:35]
	s_delay_alu instid0(VALU_DEP_3) | instskip(NEXT) | instid1(VALU_DEP_1)
	v_and_b32_e32 v1, v25, v27
	v_mad_u32 v33, v1, 24, v33
	global_load_b64 v[24:25], v[32:33], off scope:SCOPE_SYS
	s_wait_xcnt 0x0
	s_wait_loadcnt 0x0
	global_atomic_cmpswap_b64 v[32:33], v9, v[24:27], s[8:9] offset:24 th:TH_ATOMIC_RETURN scope:SCOPE_SYS
	s_wait_loadcnt 0x0
	global_inv scope:SCOPE_SYS
	v_cmp_eq_u64_e32 vcc_lo, v[32:33], v[26:27]
	s_or_b32 s18, vcc_lo, s18
	s_wait_xcnt 0x0
	s_and_not1_b32 exec_lo, exec_lo, s18
	s_cbranch_execnz .LBB4_88
; %bb.89:                               ;   in Loop: Header=BB4_36 Depth=1
	s_or_b32 exec_lo, exec_lo, s18
.LBB4_90:                               ;   in Loop: Header=BB4_36 Depth=1
	s_delay_alu instid0(SALU_CYCLE_1)
	s_or_b32 exec_lo, exec_lo, s17
.LBB4_91:                               ;   in Loop: Header=BB4_36 Depth=1
	s_delay_alu instid0(SALU_CYCLE_1)
	s_or_b32 exec_lo, exec_lo, s16
	s_clause 0x1
	global_load_b64 v[34:35], v9, s[8:9] offset:40
	global_load_b128 v[24:27], v9, s[8:9]
	v_readfirstlane_b32 s16, v32
	v_readfirstlane_b32 s17, v33
	s_mov_b32 s18, exec_lo
	s_wait_loadcnt 0x1
	v_and_b32_e32 v34, s16, v34
	v_and_b32_e32 v35, s17, v35
	s_delay_alu instid0(VALU_DEP_1) | instskip(SKIP_1) | instid1(VALU_DEP_1)
	v_mul_u64_e32 v[32:33], 24, v[34:35]
	s_wait_loadcnt 0x0
	v_add_nc_u64_e32 v[32:33], v[24:25], v[32:33]
	s_wait_xcnt 0x0
	s_and_saveexec_b32 s19, s3
	s_cbranch_execz .LBB4_93
; %bb.92:                               ;   in Loop: Header=BB4_36 Depth=1
	v_mov_b32_e32 v8, s18
	global_store_b128 v[32:33], v[8:11], off offset:8
.LBB4_93:                               ;   in Loop: Header=BB4_36 Depth=1
	s_wait_xcnt 0x0
	s_or_b32 exec_lo, exec_lo, s19
	v_cmp_lt_u64_e64 vcc_lo, s[12:13], 57
	v_lshlrev_b64_e32 v[34:35], 12, v[34:35]
	v_and_b32_e32 v4, 0xffffff1f, v4
	s_lshl_b32 s18, s14, 2
	s_delay_alu instid0(SALU_CYCLE_1) | instskip(SKIP_1) | instid1(VALU_DEP_3)
	s_add_co_i32 s18, s18, 28
	v_cndmask_b32_e32 v1, 0, v30, vcc_lo
	v_add_nc_u64_e32 v[26:27], v[26:27], v[34:35]
	s_delay_alu instid0(VALU_DEP_2) | instskip(NEXT) | instid1(VALU_DEP_2)
	v_or_b32_e32 v1, v4, v1
	v_readfirstlane_b32 s19, v27
	s_delay_alu instid0(VALU_DEP_2) | instskip(NEXT) | instid1(VALU_DEP_4)
	v_and_or_b32 v4, 0x1e0, s18, v1
	v_readfirstlane_b32 s18, v26
	s_clause 0x3
	global_store_b128 v0, v[4:7], s[18:19]
	global_store_b128 v0, v[12:15], s[18:19] offset:16
	global_store_b128 v0, v[16:19], s[18:19] offset:32
	;; [unrolled: 1-line block ×3, first 2 shown]
	s_wait_xcnt 0x0
	s_and_saveexec_b32 s18, s3
	s_cbranch_execz .LBB4_101
; %bb.94:                               ;   in Loop: Header=BB4_36 Depth=1
	s_clause 0x1
	global_load_b64 v[16:17], v9, s[8:9] offset:32 scope:SCOPE_SYS
	global_load_b64 v[4:5], v9, s[8:9] offset:40
	s_mov_b32 s19, exec_lo
	v_dual_mov_b32 v14, s16 :: v_dual_mov_b32 v15, s17
	s_wait_loadcnt 0x0
	v_and_b32_e32 v5, s17, v5
	v_and_b32_e32 v4, s16, v4
	s_delay_alu instid0(VALU_DEP_1) | instskip(NEXT) | instid1(VALU_DEP_1)
	v_mul_u64_e32 v[4:5], 24, v[4:5]
	v_add_nc_u64_e32 v[12:13], v[24:25], v[4:5]
	global_store_b64 v[12:13], v[16:17], off
	global_wb scope:SCOPE_SYS
	s_wait_storecnt 0x0
	s_wait_xcnt 0x0
	global_atomic_cmpswap_b64 v[6:7], v9, v[14:17], s[8:9] offset:32 th:TH_ATOMIC_RETURN scope:SCOPE_SYS
	s_wait_loadcnt 0x0
	v_cmpx_ne_u64_e64 v[6:7], v[16:17]
	s_cbranch_execz .LBB4_97
; %bb.95:                               ;   in Loop: Header=BB4_36 Depth=1
	s_mov_b32 s20, 0
.LBB4_96:                               ;   Parent Loop BB4_36 Depth=1
                                        ; =>  This Inner Loop Header: Depth=2
	v_dual_mov_b32 v4, s16 :: v_dual_mov_b32 v5, s17
	s_sleep 1
	global_store_b64 v[12:13], v[6:7], off
	global_wb scope:SCOPE_SYS
	s_wait_storecnt 0x0
	s_wait_xcnt 0x0
	global_atomic_cmpswap_b64 v[4:5], v9, v[4:7], s[8:9] offset:32 th:TH_ATOMIC_RETURN scope:SCOPE_SYS
	s_wait_loadcnt 0x0
	v_cmp_eq_u64_e32 vcc_lo, v[4:5], v[6:7]
	v_mov_b64_e32 v[6:7], v[4:5]
	s_or_b32 s20, vcc_lo, s20
	s_delay_alu instid0(SALU_CYCLE_1)
	s_and_not1_b32 exec_lo, exec_lo, s20
	s_cbranch_execnz .LBB4_96
.LBB4_97:                               ;   in Loop: Header=BB4_36 Depth=1
	s_or_b32 exec_lo, exec_lo, s19
	global_load_b64 v[4:5], v9, s[8:9] offset:16
	s_mov_b32 s20, exec_lo
	s_mov_b32 s19, exec_lo
	v_mbcnt_lo_u32_b32 v1, s20, 0
	s_wait_xcnt 0x0
	s_delay_alu instid0(VALU_DEP_1)
	v_cmpx_eq_u32_e32 0, v1
	s_cbranch_execz .LBB4_99
; %bb.98:                               ;   in Loop: Header=BB4_36 Depth=1
	s_bcnt1_i32_b32 s20, s20
	s_delay_alu instid0(SALU_CYCLE_1)
	v_mov_b32_e32 v8, s20
	global_wb scope:SCOPE_SYS
	s_wait_loadcnt 0x0
	s_wait_storecnt 0x0
	global_atomic_add_u64 v[4:5], v[8:9], off offset:8 scope:SCOPE_SYS
.LBB4_99:                               ;   in Loop: Header=BB4_36 Depth=1
	s_wait_xcnt 0x0
	s_or_b32 exec_lo, exec_lo, s19
	s_wait_loadcnt 0x0
	global_load_b64 v[6:7], v[4:5], off offset:16
	s_wait_loadcnt 0x0
	v_cmp_eq_u64_e32 vcc_lo, 0, v[6:7]
	s_cbranch_vccnz .LBB4_101
; %bb.100:                              ;   in Loop: Header=BB4_36 Depth=1
	global_load_b32 v8, v[4:5], off offset:24
	s_wait_loadcnt 0x0
	v_readfirstlane_b32 s19, v8
	global_wb scope:SCOPE_SYS
	s_wait_storecnt 0x0
	s_wait_xcnt 0x0
	global_store_b64 v[6:7], v[8:9], off scope:SCOPE_SYS
	s_and_b32 m0, s19, 0xffffff
	s_sendmsg sendmsg(MSG_INTERRUPT)
.LBB4_101:                              ;   in Loop: Header=BB4_36 Depth=1
	s_wait_xcnt 0x0
	s_or_b32 exec_lo, exec_lo, s18
	v_mov_b32_e32 v1, v9
	s_delay_alu instid0(VALU_DEP_1)
	v_add_nc_u64_e32 v[4:5], v[26:27], v[0:1]
	s_branch .LBB4_105
.LBB4_102:                              ;   in Loop: Header=BB4_105 Depth=2
	s_wait_xcnt 0x0
	s_or_b32 exec_lo, exec_lo, s18
	s_delay_alu instid0(VALU_DEP_1)
	v_readfirstlane_b32 s18, v1
	s_cmp_eq_u32 s18, 0
	s_cbranch_scc1 .LBB4_104
; %bb.103:                              ;   in Loop: Header=BB4_105 Depth=2
	s_sleep 1
	s_cbranch_execnz .LBB4_105
	s_branch .LBB4_107
.LBB4_104:                              ;   in Loop: Header=BB4_36 Depth=1
	s_branch .LBB4_107
.LBB4_105:                              ;   Parent Loop BB4_36 Depth=1
                                        ; =>  This Inner Loop Header: Depth=2
	v_mov_b32_e32 v1, 1
	s_and_saveexec_b32 s18, s3
	s_cbranch_execz .LBB4_102
; %bb.106:                              ;   in Loop: Header=BB4_105 Depth=2
	global_load_b32 v1, v[32:33], off offset:20 scope:SCOPE_SYS
	s_wait_loadcnt 0x0
	global_inv scope:SCOPE_SYS
	v_and_b32_e32 v1, 1, v1
	s_branch .LBB4_102
.LBB4_107:                              ;   in Loop: Header=BB4_36 Depth=1
	global_load_b64 v[4:5], v[4:5], off
	s_wait_xcnt 0x0
	s_and_saveexec_b32 s18, s3
	s_cbranch_execz .LBB4_35
; %bb.108:                              ;   in Loop: Header=BB4_36 Depth=1
	s_clause 0x2
	global_load_b64 v[6:7], v9, s[8:9] offset:40
	global_load_b64 v[16:17], v9, s[8:9] offset:24 scope:SCOPE_SYS
	global_load_b64 v[12:13], v9, s[8:9]
	s_wait_loadcnt 0x2
	v_readfirstlane_b32 s20, v6
	v_readfirstlane_b32 s21, v7
	s_add_nc_u64 s[24:25], s[20:21], 1
	s_delay_alu instid0(SALU_CYCLE_1) | instskip(NEXT) | instid1(SALU_CYCLE_1)
	s_add_nc_u64 s[16:17], s[24:25], s[16:17]
	s_cmp_eq_u64 s[16:17], 0
	s_cselect_b32 s17, s25, s17
	s_cselect_b32 s16, s24, s16
	s_delay_alu instid0(SALU_CYCLE_1) | instskip(SKIP_1) | instid1(SALU_CYCLE_1)
	v_dual_mov_b32 v15, s17 :: v_dual_mov_b32 v14, s16
	s_and_b64 s[20:21], s[16:17], s[20:21]
	s_mul_u64 s[20:21], s[20:21], 24
	s_wait_loadcnt 0x0
	v_add_nc_u64_e32 v[6:7], s[20:21], v[12:13]
	global_store_b64 v[6:7], v[16:17], off
	global_wb scope:SCOPE_SYS
	s_wait_storecnt 0x0
	s_wait_xcnt 0x0
	global_atomic_cmpswap_b64 v[14:15], v9, v[14:17], s[8:9] offset:24 th:TH_ATOMIC_RETURN scope:SCOPE_SYS
	s_wait_loadcnt 0x0
	v_cmp_ne_u64_e32 vcc_lo, v[14:15], v[16:17]
	s_and_b32 exec_lo, exec_lo, vcc_lo
	s_cbranch_execz .LBB4_35
; %bb.109:                              ;   in Loop: Header=BB4_36 Depth=1
	s_mov_b32 s3, 0
.LBB4_110:                              ;   Parent Loop BB4_36 Depth=1
                                        ; =>  This Inner Loop Header: Depth=2
	v_dual_mov_b32 v12, s16 :: v_dual_mov_b32 v13, s17
	s_sleep 1
	global_store_b64 v[6:7], v[14:15], off
	global_wb scope:SCOPE_SYS
	s_wait_storecnt 0x0
	s_wait_xcnt 0x0
	global_atomic_cmpswap_b64 v[12:13], v9, v[12:15], s[8:9] offset:24 th:TH_ATOMIC_RETURN scope:SCOPE_SYS
	s_wait_loadcnt 0x0
	v_cmp_eq_u64_e32 vcc_lo, v[12:13], v[14:15]
	v_mov_b64_e32 v[14:15], v[12:13]
	s_or_b32 s3, vcc_lo, s3
	s_delay_alu instid0(SALU_CYCLE_1)
	s_and_not1_b32 exec_lo, exec_lo, s3
	s_cbranch_execnz .LBB4_110
	s_branch .LBB4_35
.LBB4_111:
	s_branch .LBB4_140
.LBB4_112:
                                        ; implicit-def: $vgpr4_vgpr5
	s_cbranch_execz .LBB4_140
; %bb.113:
	v_readfirstlane_b32 s3, v29
	s_wait_loadcnt 0x0
	v_mov_b64_e32 v[4:5], 0
	s_delay_alu instid0(VALU_DEP_2)
	v_cmp_eq_u32_e64 s3, s3, v29
	s_and_saveexec_b32 s10, s3
	s_cbranch_execz .LBB4_119
; %bb.114:
	v_mov_b32_e32 v1, 0
	s_mov_b32 s11, exec_lo
	global_load_b64 v[6:7], v1, s[8:9] offset:24 scope:SCOPE_SYS
	s_wait_loadcnt 0x0
	global_inv scope:SCOPE_SYS
	s_clause 0x1
	global_load_b64 v[4:5], v1, s[8:9] offset:40
	global_load_b64 v[8:9], v1, s[8:9]
	s_wait_loadcnt 0x1
	v_and_b32_e32 v4, v4, v6
	v_and_b32_e32 v5, v5, v7
	s_delay_alu instid0(VALU_DEP_1) | instskip(SKIP_1) | instid1(VALU_DEP_1)
	v_mul_u64_e32 v[4:5], 24, v[4:5]
	s_wait_loadcnt 0x0
	v_add_nc_u64_e32 v[4:5], v[8:9], v[4:5]
	global_load_b64 v[4:5], v[4:5], off scope:SCOPE_SYS
	s_wait_xcnt 0x0
	s_wait_loadcnt 0x0
	global_atomic_cmpswap_b64 v[4:5], v1, v[4:7], s[8:9] offset:24 th:TH_ATOMIC_RETURN scope:SCOPE_SYS
	s_wait_loadcnt 0x0
	global_inv scope:SCOPE_SYS
	s_wait_xcnt 0x0
	v_cmpx_ne_u64_e64 v[4:5], v[6:7]
	s_cbranch_execz .LBB4_118
; %bb.115:
	s_mov_b32 s12, 0
.LBB4_116:                              ; =>This Inner Loop Header: Depth=1
	s_sleep 1
	s_clause 0x1
	global_load_b64 v[8:9], v1, s[8:9] offset:40
	global_load_b64 v[10:11], v1, s[8:9]
	v_mov_b64_e32 v[6:7], v[4:5]
	s_wait_loadcnt 0x1
	s_delay_alu instid0(VALU_DEP_1) | instskip(NEXT) | instid1(VALU_DEP_2)
	v_and_b32_e32 v4, v8, v6
	v_and_b32_e32 v8, v9, v7
	s_wait_loadcnt 0x0
	s_delay_alu instid0(VALU_DEP_2) | instskip(NEXT) | instid1(VALU_DEP_1)
	v_mad_nc_u64_u32 v[4:5], v4, 24, v[10:11]
	v_mad_u32 v5, v8, 24, v5
	global_load_b64 v[4:5], v[4:5], off scope:SCOPE_SYS
	s_wait_xcnt 0x0
	s_wait_loadcnt 0x0
	global_atomic_cmpswap_b64 v[4:5], v1, v[4:7], s[8:9] offset:24 th:TH_ATOMIC_RETURN scope:SCOPE_SYS
	s_wait_loadcnt 0x0
	global_inv scope:SCOPE_SYS
	v_cmp_eq_u64_e32 vcc_lo, v[4:5], v[6:7]
	s_or_b32 s12, vcc_lo, s12
	s_wait_xcnt 0x0
	s_and_not1_b32 exec_lo, exec_lo, s12
	s_cbranch_execnz .LBB4_116
; %bb.117:
	s_or_b32 exec_lo, exec_lo, s12
.LBB4_118:
	s_delay_alu instid0(SALU_CYCLE_1)
	s_or_b32 exec_lo, exec_lo, s11
.LBB4_119:
	s_delay_alu instid0(SALU_CYCLE_1)
	s_or_b32 exec_lo, exec_lo, s10
	v_readfirstlane_b32 s10, v4
	v_mov_b32_e32 v1, 0
	v_readfirstlane_b32 s11, v5
	s_mov_b32 s12, exec_lo
	s_clause 0x1
	global_load_b64 v[10:11], v1, s[8:9] offset:40
	global_load_b128 v[6:9], v1, s[8:9]
	s_wait_loadcnt 0x1
	v_and_b32_e32 v4, s10, v10
	v_and_b32_e32 v5, s11, v11
	s_delay_alu instid0(VALU_DEP_1) | instskip(SKIP_1) | instid1(VALU_DEP_1)
	v_mul_u64_e32 v[10:11], 24, v[4:5]
	s_wait_loadcnt 0x0
	v_add_nc_u64_e32 v[10:11], v[6:7], v[10:11]
	s_wait_xcnt 0x0
	s_and_saveexec_b32 s13, s3
	s_cbranch_execz .LBB4_121
; %bb.120:
	v_mov_b64_e32 v[14:15], 0x100000002
	v_dual_mov_b32 v12, s12 :: v_dual_mov_b32 v13, v1
	global_store_b128 v[10:11], v[12:15], off offset:8
.LBB4_121:
	s_wait_xcnt 0x0
	s_or_b32 exec_lo, exec_lo, s13
	v_lshlrev_b64_e32 v[4:5], 12, v[4:5]
	s_mov_b32 s12, 0
	v_and_or_b32 v2, 0xffffff1f, v2, 32
	s_mov_b32 s13, s12
	s_mov_b32 s14, s12
	;; [unrolled: 1-line block ×3, first 2 shown]
	v_mov_b64_e32 v[12:13], s[12:13]
	v_add_nc_u64_e32 v[8:9], v[8:9], v[4:5]
	v_mov_b64_e32 v[14:15], s[14:15]
	v_dual_mov_b32 v4, v1 :: v_dual_mov_b32 v5, v1
	s_delay_alu instid0(VALU_DEP_3) | instskip(NEXT) | instid1(VALU_DEP_4)
	v_readfirstlane_b32 s16, v8
	v_readfirstlane_b32 s17, v9
	s_clause 0x3
	global_store_b128 v0, v[2:5], s[16:17]
	global_store_b128 v0, v[12:15], s[16:17] offset:16
	global_store_b128 v0, v[12:15], s[16:17] offset:32
	;; [unrolled: 1-line block ×3, first 2 shown]
	s_wait_xcnt 0x0
	s_and_saveexec_b32 s12, s3
	s_cbranch_execz .LBB4_129
; %bb.122:
	v_dual_mov_b32 v12, 0 :: v_dual_mov_b32 v15, s11
	s_mov_b32 s13, exec_lo
	s_clause 0x1
	global_load_b64 v[16:17], v12, s[8:9] offset:32 scope:SCOPE_SYS
	global_load_b64 v[2:3], v12, s[8:9] offset:40
	s_wait_loadcnt 0x0
	v_dual_mov_b32 v14, s10 :: v_dual_bitop2_b32 v3, s11, v3 bitop3:0x40
	v_and_b32_e32 v2, s10, v2
	s_delay_alu instid0(VALU_DEP_1) | instskip(NEXT) | instid1(VALU_DEP_1)
	v_mul_u64_e32 v[2:3], 24, v[2:3]
	v_add_nc_u64_e32 v[6:7], v[6:7], v[2:3]
	global_store_b64 v[6:7], v[16:17], off
	global_wb scope:SCOPE_SYS
	s_wait_storecnt 0x0
	s_wait_xcnt 0x0
	global_atomic_cmpswap_b64 v[4:5], v12, v[14:17], s[8:9] offset:32 th:TH_ATOMIC_RETURN scope:SCOPE_SYS
	s_wait_loadcnt 0x0
	v_cmpx_ne_u64_e64 v[4:5], v[16:17]
	s_cbranch_execz .LBB4_125
; %bb.123:
	s_mov_b32 s14, 0
.LBB4_124:                              ; =>This Inner Loop Header: Depth=1
	v_dual_mov_b32 v2, s10 :: v_dual_mov_b32 v3, s11
	s_sleep 1
	global_store_b64 v[6:7], v[4:5], off
	global_wb scope:SCOPE_SYS
	s_wait_storecnt 0x0
	s_wait_xcnt 0x0
	global_atomic_cmpswap_b64 v[2:3], v12, v[2:5], s[8:9] offset:32 th:TH_ATOMIC_RETURN scope:SCOPE_SYS
	s_wait_loadcnt 0x0
	v_cmp_eq_u64_e32 vcc_lo, v[2:3], v[4:5]
	v_mov_b64_e32 v[4:5], v[2:3]
	s_or_b32 s14, vcc_lo, s14
	s_delay_alu instid0(SALU_CYCLE_1)
	s_and_not1_b32 exec_lo, exec_lo, s14
	s_cbranch_execnz .LBB4_124
.LBB4_125:
	s_or_b32 exec_lo, exec_lo, s13
	v_mov_b32_e32 v5, 0
	s_mov_b32 s14, exec_lo
	s_mov_b32 s13, exec_lo
	v_mbcnt_lo_u32_b32 v4, s14, 0
	global_load_b64 v[2:3], v5, s[8:9] offset:16
	s_wait_xcnt 0x0
	v_cmpx_eq_u32_e32 0, v4
	s_cbranch_execz .LBB4_127
; %bb.126:
	s_bcnt1_i32_b32 s14, s14
	s_delay_alu instid0(SALU_CYCLE_1)
	v_mov_b32_e32 v4, s14
	global_wb scope:SCOPE_SYS
	s_wait_loadcnt 0x0
	s_wait_storecnt 0x0
	global_atomic_add_u64 v[2:3], v[4:5], off offset:8 scope:SCOPE_SYS
.LBB4_127:
	s_wait_xcnt 0x0
	s_or_b32 exec_lo, exec_lo, s13
	s_wait_loadcnt 0x0
	global_load_b64 v[4:5], v[2:3], off offset:16
	s_wait_loadcnt 0x0
	v_cmp_eq_u64_e32 vcc_lo, 0, v[4:5]
	s_cbranch_vccnz .LBB4_129
; %bb.128:
	global_load_b32 v2, v[2:3], off offset:24
	s_wait_xcnt 0x0
	v_mov_b32_e32 v3, 0
	s_wait_loadcnt 0x0
	v_readfirstlane_b32 s13, v2
	global_wb scope:SCOPE_SYS
	s_wait_storecnt 0x0
	global_store_b64 v[4:5], v[2:3], off scope:SCOPE_SYS
	s_and_b32 m0, s13, 0xffffff
	s_sendmsg sendmsg(MSG_INTERRUPT)
.LBB4_129:
	s_wait_xcnt 0x0
	s_or_b32 exec_lo, exec_lo, s12
	v_add_nc_u64_e32 v[2:3], v[8:9], v[0:1]
	s_branch .LBB4_133
.LBB4_130:                              ;   in Loop: Header=BB4_133 Depth=1
	s_wait_xcnt 0x0
	s_or_b32 exec_lo, exec_lo, s12
	s_delay_alu instid0(VALU_DEP_1)
	v_readfirstlane_b32 s12, v1
	s_cmp_eq_u32 s12, 0
	s_cbranch_scc1 .LBB4_132
; %bb.131:                              ;   in Loop: Header=BB4_133 Depth=1
	s_sleep 1
	s_cbranch_execnz .LBB4_133
	s_branch .LBB4_135
.LBB4_132:
	s_branch .LBB4_135
.LBB4_133:                              ; =>This Inner Loop Header: Depth=1
	v_mov_b32_e32 v1, 1
	s_and_saveexec_b32 s12, s3
	s_cbranch_execz .LBB4_130
; %bb.134:                              ;   in Loop: Header=BB4_133 Depth=1
	global_load_b32 v1, v[10:11], off offset:20 scope:SCOPE_SYS
	s_wait_loadcnt 0x0
	global_inv scope:SCOPE_SYS
	v_and_b32_e32 v1, 1, v1
	s_branch .LBB4_130
.LBB4_135:
	global_load_b64 v[4:5], v[2:3], off
	s_wait_xcnt 0x0
	s_and_saveexec_b32 s12, s3
	s_cbranch_execz .LBB4_139
; %bb.136:
	v_mov_b32_e32 v1, 0
	s_clause 0x2
	global_load_b64 v[2:3], v1, s[8:9] offset:40
	global_load_b64 v[10:11], v1, s[8:9] offset:24 scope:SCOPE_SYS
	global_load_b64 v[6:7], v1, s[8:9]
	s_wait_loadcnt 0x2
	v_readfirstlane_b32 s14, v2
	v_readfirstlane_b32 s15, v3
	s_add_nc_u64 s[16:17], s[14:15], 1
	s_delay_alu instid0(SALU_CYCLE_1) | instskip(NEXT) | instid1(SALU_CYCLE_1)
	s_add_nc_u64 s[10:11], s[16:17], s[10:11]
	s_cmp_eq_u64 s[10:11], 0
	s_cselect_b32 s11, s17, s11
	s_cselect_b32 s10, s16, s10
	v_mov_b32_e32 v9, s11
	s_and_b64 s[14:15], s[10:11], s[14:15]
	v_mov_b32_e32 v8, s10
	s_mul_u64 s[14:15], s[14:15], 24
	s_wait_loadcnt 0x0
	v_add_nc_u64_e32 v[2:3], s[14:15], v[6:7]
	global_store_b64 v[2:3], v[10:11], off
	global_wb scope:SCOPE_SYS
	s_wait_storecnt 0x0
	s_wait_xcnt 0x0
	global_atomic_cmpswap_b64 v[8:9], v1, v[8:11], s[8:9] offset:24 th:TH_ATOMIC_RETURN scope:SCOPE_SYS
	s_wait_loadcnt 0x0
	v_cmp_ne_u64_e32 vcc_lo, v[8:9], v[10:11]
	s_and_b32 exec_lo, exec_lo, vcc_lo
	s_cbranch_execz .LBB4_139
; %bb.137:
	s_mov_b32 s3, 0
.LBB4_138:                              ; =>This Inner Loop Header: Depth=1
	v_dual_mov_b32 v6, s10 :: v_dual_mov_b32 v7, s11
	s_sleep 1
	global_store_b64 v[2:3], v[8:9], off
	global_wb scope:SCOPE_SYS
	s_wait_storecnt 0x0
	s_wait_xcnt 0x0
	global_atomic_cmpswap_b64 v[6:7], v1, v[6:9], s[8:9] offset:24 th:TH_ATOMIC_RETURN scope:SCOPE_SYS
	s_wait_loadcnt 0x0
	v_cmp_eq_u64_e32 vcc_lo, v[6:7], v[8:9]
	v_mov_b64_e32 v[8:9], v[6:7]
	s_or_b32 s3, vcc_lo, s3
	s_delay_alu instid0(SALU_CYCLE_1)
	s_and_not1_b32 exec_lo, exec_lo, s3
	s_cbranch_execnz .LBB4_138
.LBB4_139:
	s_or_b32 exec_lo, exec_lo, s12
.LBB4_140:
	v_readfirstlane_b32 s3, v29
	s_wait_loadcnt 0x0
	v_mov_b64_e32 v[2:3], 0
	s_delay_alu instid0(VALU_DEP_2)
	v_cmp_eq_u32_e64 s3, s3, v29
	s_and_saveexec_b32 s10, s3
	s_cbranch_execz .LBB4_146
; %bb.141:
	v_mov_b32_e32 v1, 0
	s_mov_b32 s11, exec_lo
	global_load_b64 v[8:9], v1, s[8:9] offset:24 scope:SCOPE_SYS
	s_wait_loadcnt 0x0
	global_inv scope:SCOPE_SYS
	s_clause 0x1
	global_load_b64 v[2:3], v1, s[8:9] offset:40
	global_load_b64 v[6:7], v1, s[8:9]
	s_wait_loadcnt 0x1
	v_and_b32_e32 v2, v2, v8
	v_and_b32_e32 v3, v3, v9
	s_delay_alu instid0(VALU_DEP_1) | instskip(SKIP_1) | instid1(VALU_DEP_1)
	v_mul_u64_e32 v[2:3], 24, v[2:3]
	s_wait_loadcnt 0x0
	v_add_nc_u64_e32 v[2:3], v[6:7], v[2:3]
	global_load_b64 v[6:7], v[2:3], off scope:SCOPE_SYS
	s_wait_xcnt 0x0
	s_wait_loadcnt 0x0
	global_atomic_cmpswap_b64 v[2:3], v1, v[6:9], s[8:9] offset:24 th:TH_ATOMIC_RETURN scope:SCOPE_SYS
	s_wait_loadcnt 0x0
	global_inv scope:SCOPE_SYS
	s_wait_xcnt 0x0
	v_cmpx_ne_u64_e64 v[2:3], v[8:9]
	s_cbranch_execz .LBB4_145
; %bb.142:
	s_mov_b32 s12, 0
.LBB4_143:                              ; =>This Inner Loop Header: Depth=1
	s_sleep 1
	s_clause 0x1
	global_load_b64 v[6:7], v1, s[8:9] offset:40
	global_load_b64 v[10:11], v1, s[8:9]
	v_mov_b64_e32 v[8:9], v[2:3]
	s_wait_loadcnt 0x1
	s_delay_alu instid0(VALU_DEP_1) | instskip(NEXT) | instid1(VALU_DEP_2)
	v_and_b32_e32 v2, v6, v8
	v_and_b32_e32 v6, v7, v9
	s_wait_loadcnt 0x0
	s_delay_alu instid0(VALU_DEP_2) | instskip(NEXT) | instid1(VALU_DEP_1)
	v_mad_nc_u64_u32 v[2:3], v2, 24, v[10:11]
	v_mad_u32 v3, v6, 24, v3
	global_load_b64 v[6:7], v[2:3], off scope:SCOPE_SYS
	s_wait_xcnt 0x0
	s_wait_loadcnt 0x0
	global_atomic_cmpswap_b64 v[2:3], v1, v[6:9], s[8:9] offset:24 th:TH_ATOMIC_RETURN scope:SCOPE_SYS
	s_wait_loadcnt 0x0
	global_inv scope:SCOPE_SYS
	v_cmp_eq_u64_e32 vcc_lo, v[2:3], v[8:9]
	s_or_b32 s12, vcc_lo, s12
	s_wait_xcnt 0x0
	s_and_not1_b32 exec_lo, exec_lo, s12
	s_cbranch_execnz .LBB4_143
; %bb.144:
	s_or_b32 exec_lo, exec_lo, s12
.LBB4_145:
	s_delay_alu instid0(SALU_CYCLE_1)
	s_or_b32 exec_lo, exec_lo, s11
.LBB4_146:
	s_delay_alu instid0(SALU_CYCLE_1)
	s_or_b32 exec_lo, exec_lo, s10
	v_readfirstlane_b32 s10, v2
	v_mov_b32_e32 v1, 0
	v_readfirstlane_b32 s11, v3
	s_mov_b32 s12, exec_lo
	s_clause 0x1
	global_load_b64 v[6:7], v1, s[8:9] offset:40
	global_load_b128 v[8:11], v1, s[8:9]
	s_wait_loadcnt 0x1
	v_and_b32_e32 v2, s10, v6
	v_and_b32_e32 v3, s11, v7
	s_delay_alu instid0(VALU_DEP_1) | instskip(SKIP_1) | instid1(VALU_DEP_1)
	v_mul_u64_e32 v[6:7], 24, v[2:3]
	s_wait_loadcnt 0x0
	v_add_nc_u64_e32 v[12:13], v[8:9], v[6:7]
	s_wait_xcnt 0x0
	s_and_saveexec_b32 s13, s3
	s_cbranch_execz .LBB4_148
; %bb.147:
	v_mov_b64_e32 v[16:17], 0x100000002
	v_dual_mov_b32 v14, s12 :: v_dual_mov_b32 v15, v1
	global_store_b128 v[12:13], v[14:17], off offset:8
.LBB4_148:
	s_wait_xcnt 0x0
	s_or_b32 exec_lo, exec_lo, s13
	v_lshlrev_b64_e32 v[2:3], 12, v[2:3]
	s_mov_b32 s16, 0
	s_add_co_i32 s12, s22, -1
	s_mov_b32 s17, s16
	s_mov_b32 s18, s16
	;; [unrolled: 1-line block ×3, first 2 shown]
	v_mov_b64_e32 v[14:15], s[16:17]
	v_add_nc_u64_e32 v[10:11], v[10:11], v[2:3]
	v_mov_b64_e32 v[16:17], s[18:19]
	v_and_or_b32 v4, 0xffffff1f, v4, 32
	v_dual_mov_b32 v7, v1 :: v_dual_mov_b32 v6, s12
	s_delay_alu instid0(VALU_DEP_4)
	v_readfirstlane_b32 s14, v10
	v_readfirstlane_b32 s15, v11
	s_clause 0x3
	global_store_b128 v0, v[4:7], s[14:15]
	global_store_b128 v0, v[14:17], s[14:15] offset:16
	global_store_b128 v0, v[14:17], s[14:15] offset:32
	;; [unrolled: 1-line block ×3, first 2 shown]
	s_wait_xcnt 0x0
	s_and_saveexec_b32 s13, s3
	s_cbranch_execz .LBB4_156
; %bb.149:
	v_dual_mov_b32 v14, 0 :: v_dual_mov_b32 v17, s11
	s_mov_b32 s14, exec_lo
	s_clause 0x1
	global_load_b64 v[18:19], v14, s[8:9] offset:32 scope:SCOPE_SYS
	global_load_b64 v[2:3], v14, s[8:9] offset:40
	s_wait_loadcnt 0x0
	v_dual_mov_b32 v16, s10 :: v_dual_bitop2_b32 v3, s11, v3 bitop3:0x40
	v_and_b32_e32 v2, s10, v2
	s_delay_alu instid0(VALU_DEP_1) | instskip(NEXT) | instid1(VALU_DEP_1)
	v_mul_u64_e32 v[2:3], 24, v[2:3]
	v_add_nc_u64_e32 v[6:7], v[8:9], v[2:3]
	global_store_b64 v[6:7], v[18:19], off
	global_wb scope:SCOPE_SYS
	s_wait_storecnt 0x0
	s_wait_xcnt 0x0
	global_atomic_cmpswap_b64 v[4:5], v14, v[16:19], s[8:9] offset:32 th:TH_ATOMIC_RETURN scope:SCOPE_SYS
	s_wait_loadcnt 0x0
	v_cmpx_ne_u64_e64 v[4:5], v[18:19]
	s_cbranch_execz .LBB4_152
; %bb.150:
	s_mov_b32 s15, 0
.LBB4_151:                              ; =>This Inner Loop Header: Depth=1
	v_dual_mov_b32 v2, s10 :: v_dual_mov_b32 v3, s11
	s_sleep 1
	global_store_b64 v[6:7], v[4:5], off
	global_wb scope:SCOPE_SYS
	s_wait_storecnt 0x0
	s_wait_xcnt 0x0
	global_atomic_cmpswap_b64 v[2:3], v14, v[2:5], s[8:9] offset:32 th:TH_ATOMIC_RETURN scope:SCOPE_SYS
	s_wait_loadcnt 0x0
	v_cmp_eq_u64_e32 vcc_lo, v[2:3], v[4:5]
	v_mov_b64_e32 v[4:5], v[2:3]
	s_or_b32 s15, vcc_lo, s15
	s_delay_alu instid0(SALU_CYCLE_1)
	s_and_not1_b32 exec_lo, exec_lo, s15
	s_cbranch_execnz .LBB4_151
.LBB4_152:
	s_or_b32 exec_lo, exec_lo, s14
	v_mov_b32_e32 v5, 0
	s_mov_b32 s15, exec_lo
	s_mov_b32 s14, exec_lo
	v_mbcnt_lo_u32_b32 v4, s15, 0
	global_load_b64 v[2:3], v5, s[8:9] offset:16
	s_wait_xcnt 0x0
	v_cmpx_eq_u32_e32 0, v4
	s_cbranch_execz .LBB4_154
; %bb.153:
	s_bcnt1_i32_b32 s15, s15
	s_delay_alu instid0(SALU_CYCLE_1)
	v_mov_b32_e32 v4, s15
	global_wb scope:SCOPE_SYS
	s_wait_loadcnt 0x0
	s_wait_storecnt 0x0
	global_atomic_add_u64 v[2:3], v[4:5], off offset:8 scope:SCOPE_SYS
.LBB4_154:
	s_wait_xcnt 0x0
	s_or_b32 exec_lo, exec_lo, s14
	s_wait_loadcnt 0x0
	global_load_b64 v[4:5], v[2:3], off offset:16
	s_wait_loadcnt 0x0
	v_cmp_eq_u64_e32 vcc_lo, 0, v[4:5]
	s_cbranch_vccnz .LBB4_156
; %bb.155:
	global_load_b32 v2, v[2:3], off offset:24
	s_wait_xcnt 0x0
	v_mov_b32_e32 v3, 0
	s_wait_loadcnt 0x0
	v_readfirstlane_b32 s14, v2
	global_wb scope:SCOPE_SYS
	s_wait_storecnt 0x0
	global_store_b64 v[4:5], v[2:3], off scope:SCOPE_SYS
	s_and_b32 m0, s14, 0xffffff
	s_sendmsg sendmsg(MSG_INTERRUPT)
.LBB4_156:
	s_wait_xcnt 0x0
	s_or_b32 exec_lo, exec_lo, s13
	v_add_nc_u64_e32 v[2:3], v[10:11], v[0:1]
	s_branch .LBB4_160
.LBB4_157:                              ;   in Loop: Header=BB4_160 Depth=1
	s_wait_xcnt 0x0
	s_or_b32 exec_lo, exec_lo, s13
	s_delay_alu instid0(VALU_DEP_1)
	v_readfirstlane_b32 s13, v1
	s_cmp_eq_u32 s13, 0
	s_cbranch_scc1 .LBB4_159
; %bb.158:                              ;   in Loop: Header=BB4_160 Depth=1
	s_sleep 1
	s_cbranch_execnz .LBB4_160
	s_branch .LBB4_162
.LBB4_159:
	s_branch .LBB4_162
.LBB4_160:                              ; =>This Inner Loop Header: Depth=1
	v_mov_b32_e32 v1, 1
	s_and_saveexec_b32 s13, s3
	s_cbranch_execz .LBB4_157
; %bb.161:                              ;   in Loop: Header=BB4_160 Depth=1
	global_load_b32 v1, v[12:13], off offset:20 scope:SCOPE_SYS
	s_wait_loadcnt 0x0
	global_inv scope:SCOPE_SYS
	v_and_b32_e32 v1, 1, v1
	s_branch .LBB4_157
.LBB4_162:
	global_load_b64 v[2:3], v[2:3], off
	s_wait_xcnt 0x0
	s_and_saveexec_b32 s13, s3
	s_cbranch_execz .LBB4_166
; %bb.163:
	v_mov_b32_e32 v1, 0
	s_clause 0x2
	global_load_b64 v[4:5], v1, s[8:9] offset:40
	global_load_b64 v[12:13], v1, s[8:9] offset:24 scope:SCOPE_SYS
	global_load_b64 v[6:7], v1, s[8:9]
	s_wait_loadcnt 0x2
	v_readfirstlane_b32 s14, v4
	v_readfirstlane_b32 s15, v5
	s_add_nc_u64 s[16:17], s[14:15], 1
	s_delay_alu instid0(SALU_CYCLE_1) | instskip(NEXT) | instid1(SALU_CYCLE_1)
	s_add_nc_u64 s[10:11], s[16:17], s[10:11]
	s_cmp_eq_u64 s[10:11], 0
	s_cselect_b32 s11, s17, s11
	s_cselect_b32 s10, s16, s10
	v_mov_b32_e32 v11, s11
	s_and_b64 s[14:15], s[10:11], s[14:15]
	v_mov_b32_e32 v10, s10
	s_mul_u64 s[14:15], s[14:15], 24
	s_wait_loadcnt 0x0
	v_add_nc_u64_e32 v[8:9], s[14:15], v[6:7]
	global_store_b64 v[8:9], v[12:13], off
	global_wb scope:SCOPE_SYS
	s_wait_storecnt 0x0
	s_wait_xcnt 0x0
	global_atomic_cmpswap_b64 v[6:7], v1, v[10:13], s[8:9] offset:24 th:TH_ATOMIC_RETURN scope:SCOPE_SYS
	s_wait_loadcnt 0x0
	v_cmp_ne_u64_e32 vcc_lo, v[6:7], v[12:13]
	s_and_b32 exec_lo, exec_lo, vcc_lo
	s_cbranch_execz .LBB4_166
; %bb.164:
	s_mov_b32 s3, 0
.LBB4_165:                              ; =>This Inner Loop Header: Depth=1
	v_dual_mov_b32 v4, s10 :: v_dual_mov_b32 v5, s11
	s_sleep 1
	global_store_b64 v[8:9], v[6:7], off
	global_wb scope:SCOPE_SYS
	s_wait_storecnt 0x0
	s_wait_xcnt 0x0
	global_atomic_cmpswap_b64 v[4:5], v1, v[4:7], s[8:9] offset:24 th:TH_ATOMIC_RETURN scope:SCOPE_SYS
	s_wait_loadcnt 0x0
	v_cmp_eq_u64_e32 vcc_lo, v[4:5], v[6:7]
	v_mov_b64_e32 v[6:7], v[4:5]
	s_or_b32 s3, vcc_lo, s3
	s_delay_alu instid0(SALU_CYCLE_1)
	s_and_not1_b32 exec_lo, exec_lo, s3
	s_cbranch_execnz .LBB4_165
.LBB4_166:
	s_or_b32 exec_lo, exec_lo, s13
	v_readfirstlane_b32 s3, v29
	v_mov_b64_e32 v[4:5], 0
	s_delay_alu instid0(VALU_DEP_2)
	v_cmp_eq_u32_e64 s3, s3, v29
	s_and_saveexec_b32 s10, s3
	s_cbranch_execz .LBB4_172
; %bb.167:
	v_mov_b32_e32 v1, 0
	s_mov_b32 s11, exec_lo
	global_load_b64 v[6:7], v1, s[8:9] offset:24 scope:SCOPE_SYS
	s_wait_loadcnt 0x0
	global_inv scope:SCOPE_SYS
	s_clause 0x1
	global_load_b64 v[4:5], v1, s[8:9] offset:40
	global_load_b64 v[8:9], v1, s[8:9]
	s_wait_loadcnt 0x1
	v_and_b32_e32 v4, v4, v6
	v_and_b32_e32 v5, v5, v7
	s_delay_alu instid0(VALU_DEP_1) | instskip(SKIP_1) | instid1(VALU_DEP_1)
	v_mul_u64_e32 v[4:5], 24, v[4:5]
	s_wait_loadcnt 0x0
	v_add_nc_u64_e32 v[4:5], v[8:9], v[4:5]
	global_load_b64 v[4:5], v[4:5], off scope:SCOPE_SYS
	s_wait_xcnt 0x0
	s_wait_loadcnt 0x0
	global_atomic_cmpswap_b64 v[4:5], v1, v[4:7], s[8:9] offset:24 th:TH_ATOMIC_RETURN scope:SCOPE_SYS
	s_wait_loadcnt 0x0
	global_inv scope:SCOPE_SYS
	s_wait_xcnt 0x0
	v_cmpx_ne_u64_e64 v[4:5], v[6:7]
	s_cbranch_execz .LBB4_171
; %bb.168:
	s_mov_b32 s13, 0
.LBB4_169:                              ; =>This Inner Loop Header: Depth=1
	s_sleep 1
	s_clause 0x1
	global_load_b64 v[8:9], v1, s[8:9] offset:40
	global_load_b64 v[10:11], v1, s[8:9]
	v_mov_b64_e32 v[6:7], v[4:5]
	s_wait_loadcnt 0x1
	s_delay_alu instid0(VALU_DEP_1) | instskip(NEXT) | instid1(VALU_DEP_2)
	v_and_b32_e32 v4, v8, v6
	v_and_b32_e32 v8, v9, v7
	s_wait_loadcnt 0x0
	s_delay_alu instid0(VALU_DEP_2) | instskip(NEXT) | instid1(VALU_DEP_1)
	v_mad_nc_u64_u32 v[4:5], v4, 24, v[10:11]
	v_mad_u32 v5, v8, 24, v5
	global_load_b64 v[4:5], v[4:5], off scope:SCOPE_SYS
	s_wait_xcnt 0x0
	s_wait_loadcnt 0x0
	global_atomic_cmpswap_b64 v[4:5], v1, v[4:7], s[8:9] offset:24 th:TH_ATOMIC_RETURN scope:SCOPE_SYS
	s_wait_loadcnt 0x0
	global_inv scope:SCOPE_SYS
	v_cmp_eq_u64_e32 vcc_lo, v[4:5], v[6:7]
	s_or_b32 s13, vcc_lo, s13
	s_wait_xcnt 0x0
	s_and_not1_b32 exec_lo, exec_lo, s13
	s_cbranch_execnz .LBB4_169
; %bb.170:
	s_or_b32 exec_lo, exec_lo, s13
.LBB4_171:
	s_delay_alu instid0(SALU_CYCLE_1)
	s_or_b32 exec_lo, exec_lo, s11
.LBB4_172:
	s_delay_alu instid0(SALU_CYCLE_1)
	s_or_b32 exec_lo, exec_lo, s10
	v_readfirstlane_b32 s10, v4
	v_mov_b32_e32 v1, 0
	v_readfirstlane_b32 s11, v5
	s_mov_b32 s13, exec_lo
	s_clause 0x1
	global_load_b64 v[10:11], v1, s[8:9] offset:40
	global_load_b128 v[6:9], v1, s[8:9]
	s_wait_loadcnt 0x1
	v_and_b32_e32 v4, s10, v10
	v_and_b32_e32 v5, s11, v11
	s_delay_alu instid0(VALU_DEP_1) | instskip(SKIP_1) | instid1(VALU_DEP_1)
	v_mul_u64_e32 v[10:11], 24, v[4:5]
	s_wait_loadcnt 0x0
	v_add_nc_u64_e32 v[10:11], v[6:7], v[10:11]
	s_wait_xcnt 0x0
	s_and_saveexec_b32 s14, s3
	s_cbranch_execz .LBB4_174
; %bb.173:
	v_mov_b64_e32 v[14:15], 0x100000002
	v_dual_mov_b32 v12, s13 :: v_dual_mov_b32 v13, v1
	global_store_b128 v[10:11], v[12:15], off offset:8
.LBB4_174:
	s_wait_xcnt 0x0
	s_or_b32 exec_lo, exec_lo, s14
	v_lshlrev_b64_e32 v[12:13], 12, v[4:5]
	s_mov_b32 s16, 0
	v_dual_cndmask_b32 v4, -1, v31, s2 :: v_dual_mov_b32 v5, v1
	s_mov_b32 s17, s16
	s_mov_b32 s18, s16
	;; [unrolled: 1-line block ×3, first 2 shown]
	s_delay_alu instid0(VALU_DEP_2) | instskip(SKIP_3) | instid1(VALU_DEP_4)
	v_add_nc_u64_e32 v[8:9], v[8:9], v[12:13]
	v_mov_b64_e32 v[12:13], s[16:17]
	v_mov_b64_e32 v[14:15], s[18:19]
	v_and_or_b32 v2, 0xffffff1f, v2, 32
	v_readfirstlane_b32 s14, v8
	v_readfirstlane_b32 s15, v9
	s_clause 0x3
	global_store_b128 v0, v[2:5], s[14:15]
	global_store_b128 v0, v[12:15], s[14:15] offset:16
	global_store_b128 v0, v[12:15], s[14:15] offset:32
	;; [unrolled: 1-line block ×3, first 2 shown]
	s_wait_xcnt 0x0
	s_and_saveexec_b32 s2, s3
	s_cbranch_execz .LBB4_182
; %bb.175:
	v_dual_mov_b32 v12, 0 :: v_dual_mov_b32 v15, s11
	s_mov_b32 s13, exec_lo
	s_clause 0x1
	global_load_b64 v[16:17], v12, s[8:9] offset:32 scope:SCOPE_SYS
	global_load_b64 v[2:3], v12, s[8:9] offset:40
	s_wait_loadcnt 0x0
	v_dual_mov_b32 v14, s10 :: v_dual_bitop2_b32 v3, s11, v3 bitop3:0x40
	v_and_b32_e32 v2, s10, v2
	s_delay_alu instid0(VALU_DEP_1) | instskip(NEXT) | instid1(VALU_DEP_1)
	v_mul_u64_e32 v[2:3], 24, v[2:3]
	v_add_nc_u64_e32 v[6:7], v[6:7], v[2:3]
	global_store_b64 v[6:7], v[16:17], off
	global_wb scope:SCOPE_SYS
	s_wait_storecnt 0x0
	s_wait_xcnt 0x0
	global_atomic_cmpswap_b64 v[4:5], v12, v[14:17], s[8:9] offset:32 th:TH_ATOMIC_RETURN scope:SCOPE_SYS
	s_wait_loadcnt 0x0
	v_cmpx_ne_u64_e64 v[4:5], v[16:17]
	s_cbranch_execz .LBB4_178
; %bb.176:
	s_mov_b32 s14, 0
.LBB4_177:                              ; =>This Inner Loop Header: Depth=1
	v_dual_mov_b32 v2, s10 :: v_dual_mov_b32 v3, s11
	s_sleep 1
	global_store_b64 v[6:7], v[4:5], off
	global_wb scope:SCOPE_SYS
	s_wait_storecnt 0x0
	s_wait_xcnt 0x0
	global_atomic_cmpswap_b64 v[2:3], v12, v[2:5], s[8:9] offset:32 th:TH_ATOMIC_RETURN scope:SCOPE_SYS
	s_wait_loadcnt 0x0
	v_cmp_eq_u64_e32 vcc_lo, v[2:3], v[4:5]
	v_mov_b64_e32 v[4:5], v[2:3]
	s_or_b32 s14, vcc_lo, s14
	s_delay_alu instid0(SALU_CYCLE_1)
	s_and_not1_b32 exec_lo, exec_lo, s14
	s_cbranch_execnz .LBB4_177
.LBB4_178:
	s_or_b32 exec_lo, exec_lo, s13
	v_mov_b32_e32 v5, 0
	s_mov_b32 s14, exec_lo
	s_mov_b32 s13, exec_lo
	v_mbcnt_lo_u32_b32 v4, s14, 0
	global_load_b64 v[2:3], v5, s[8:9] offset:16
	s_wait_xcnt 0x0
	v_cmpx_eq_u32_e32 0, v4
	s_cbranch_execz .LBB4_180
; %bb.179:
	s_bcnt1_i32_b32 s14, s14
	s_delay_alu instid0(SALU_CYCLE_1)
	v_mov_b32_e32 v4, s14
	global_wb scope:SCOPE_SYS
	s_wait_loadcnt 0x0
	s_wait_storecnt 0x0
	global_atomic_add_u64 v[2:3], v[4:5], off offset:8 scope:SCOPE_SYS
.LBB4_180:
	s_wait_xcnt 0x0
	s_or_b32 exec_lo, exec_lo, s13
	s_wait_loadcnt 0x0
	global_load_b64 v[4:5], v[2:3], off offset:16
	s_wait_loadcnt 0x0
	v_cmp_eq_u64_e32 vcc_lo, 0, v[4:5]
	s_cbranch_vccnz .LBB4_182
; %bb.181:
	global_load_b32 v2, v[2:3], off offset:24
	s_wait_xcnt 0x0
	v_mov_b32_e32 v3, 0
	s_wait_loadcnt 0x0
	v_readfirstlane_b32 s13, v2
	global_wb scope:SCOPE_SYS
	s_wait_storecnt 0x0
	global_store_b64 v[4:5], v[2:3], off scope:SCOPE_SYS
	s_and_b32 m0, s13, 0xffffff
	s_sendmsg sendmsg(MSG_INTERRUPT)
.LBB4_182:
	s_wait_xcnt 0x0
	s_or_b32 exec_lo, exec_lo, s2
	v_add_nc_u64_e32 v[2:3], v[8:9], v[0:1]
	s_branch .LBB4_186
.LBB4_183:                              ;   in Loop: Header=BB4_186 Depth=1
	s_wait_xcnt 0x0
	s_or_b32 exec_lo, exec_lo, s2
	s_delay_alu instid0(VALU_DEP_1)
	v_readfirstlane_b32 s2, v1
	s_cmp_eq_u32 s2, 0
	s_cbranch_scc1 .LBB4_185
; %bb.184:                              ;   in Loop: Header=BB4_186 Depth=1
	s_sleep 1
	s_cbranch_execnz .LBB4_186
	s_branch .LBB4_188
.LBB4_185:
	s_branch .LBB4_188
.LBB4_186:                              ; =>This Inner Loop Header: Depth=1
	v_mov_b32_e32 v1, 1
	s_and_saveexec_b32 s2, s3
	s_cbranch_execz .LBB4_183
; %bb.187:                              ;   in Loop: Header=BB4_186 Depth=1
	global_load_b32 v1, v[10:11], off offset:20 scope:SCOPE_SYS
	s_wait_loadcnt 0x0
	global_inv scope:SCOPE_SYS
	v_and_b32_e32 v1, 1, v1
	s_branch .LBB4_183
.LBB4_188:
	global_load_b64 v[2:3], v[2:3], off
	s_wait_xcnt 0x0
	s_and_saveexec_b32 s13, s3
	s_cbranch_execz .LBB4_192
; %bb.189:
	v_mov_b32_e32 v1, 0
	s_clause 0x2
	global_load_b64 v[4:5], v1, s[8:9] offset:40
	global_load_b64 v[12:13], v1, s[8:9] offset:24 scope:SCOPE_SYS
	global_load_b64 v[6:7], v1, s[8:9]
	s_wait_loadcnt 0x2
	v_readfirstlane_b32 s14, v4
	v_readfirstlane_b32 s15, v5
	s_add_nc_u64 s[2:3], s[14:15], 1
	s_delay_alu instid0(SALU_CYCLE_1) | instskip(NEXT) | instid1(SALU_CYCLE_1)
	s_add_nc_u64 s[10:11], s[2:3], s[10:11]
	s_cmp_eq_u64 s[10:11], 0
	s_cselect_b32 s3, s3, s11
	s_cselect_b32 s2, s2, s10
	v_mov_b32_e32 v11, s3
	s_and_b64 s[10:11], s[2:3], s[14:15]
	v_mov_b32_e32 v10, s2
	s_mul_u64 s[10:11], s[10:11], 24
	s_wait_loadcnt 0x0
	v_add_nc_u64_e32 v[8:9], s[10:11], v[6:7]
	global_store_b64 v[8:9], v[12:13], off
	global_wb scope:SCOPE_SYS
	s_wait_storecnt 0x0
	s_wait_xcnt 0x0
	global_atomic_cmpswap_b64 v[6:7], v1, v[10:13], s[8:9] offset:24 th:TH_ATOMIC_RETURN scope:SCOPE_SYS
	s_wait_loadcnt 0x0
	v_cmp_ne_u64_e32 vcc_lo, v[6:7], v[12:13]
	s_and_b32 exec_lo, exec_lo, vcc_lo
	s_cbranch_execz .LBB4_192
; %bb.190:
	s_mov_b32 s10, 0
.LBB4_191:                              ; =>This Inner Loop Header: Depth=1
	v_dual_mov_b32 v4, s2 :: v_dual_mov_b32 v5, s3
	s_sleep 1
	global_store_b64 v[8:9], v[6:7], off
	global_wb scope:SCOPE_SYS
	s_wait_storecnt 0x0
	s_wait_xcnt 0x0
	global_atomic_cmpswap_b64 v[4:5], v1, v[4:7], s[8:9] offset:24 th:TH_ATOMIC_RETURN scope:SCOPE_SYS
	s_wait_loadcnt 0x0
	v_cmp_eq_u64_e32 vcc_lo, v[4:5], v[6:7]
	v_mov_b64_e32 v[6:7], v[4:5]
	s_or_b32 s10, vcc_lo, s10
	s_delay_alu instid0(SALU_CYCLE_1)
	s_and_not1_b32 exec_lo, exec_lo, s10
	s_cbranch_execnz .LBB4_191
.LBB4_192:
	s_or_b32 exec_lo, exec_lo, s13
	v_readfirstlane_b32 s2, v29
	v_mov_b64_e32 v[10:11], 0
	s_delay_alu instid0(VALU_DEP_2)
	v_cmp_eq_u32_e64 s2, s2, v29
	s_and_saveexec_b32 s3, s2
	s_cbranch_execz .LBB4_198
; %bb.193:
	v_mov_b32_e32 v1, 0
	s_mov_b32 s10, exec_lo
	global_load_b64 v[6:7], v1, s[8:9] offset:24 scope:SCOPE_SYS
	s_wait_loadcnt 0x0
	global_inv scope:SCOPE_SYS
	s_clause 0x1
	global_load_b64 v[4:5], v1, s[8:9] offset:40
	global_load_b64 v[8:9], v1, s[8:9]
	s_wait_loadcnt 0x1
	v_and_b32_e32 v4, v4, v6
	v_and_b32_e32 v5, v5, v7
	s_delay_alu instid0(VALU_DEP_1) | instskip(SKIP_1) | instid1(VALU_DEP_1)
	v_mul_u64_e32 v[4:5], 24, v[4:5]
	s_wait_loadcnt 0x0
	v_add_nc_u64_e32 v[4:5], v[8:9], v[4:5]
	global_load_b64 v[4:5], v[4:5], off scope:SCOPE_SYS
	s_wait_xcnt 0x0
	s_wait_loadcnt 0x0
	global_atomic_cmpswap_b64 v[10:11], v1, v[4:7], s[8:9] offset:24 th:TH_ATOMIC_RETURN scope:SCOPE_SYS
	s_wait_loadcnt 0x0
	global_inv scope:SCOPE_SYS
	s_wait_xcnt 0x0
	v_cmpx_ne_u64_e64 v[10:11], v[6:7]
	s_cbranch_execz .LBB4_197
; %bb.194:
	s_mov_b32 s11, 0
.LBB4_195:                              ; =>This Inner Loop Header: Depth=1
	s_sleep 1
	s_clause 0x1
	global_load_b64 v[4:5], v1, s[8:9] offset:40
	global_load_b64 v[8:9], v1, s[8:9]
	v_mov_b64_e32 v[6:7], v[10:11]
	s_wait_loadcnt 0x1
	s_delay_alu instid0(VALU_DEP_1) | instskip(SKIP_1) | instid1(VALU_DEP_1)
	v_and_b32_e32 v4, v4, v6
	s_wait_loadcnt 0x0
	v_mad_nc_u64_u32 v[8:9], v4, 24, v[8:9]
	s_delay_alu instid0(VALU_DEP_3) | instskip(NEXT) | instid1(VALU_DEP_1)
	v_and_b32_e32 v4, v5, v7
	v_mad_u32 v9, v4, 24, v9
	global_load_b64 v[4:5], v[8:9], off scope:SCOPE_SYS
	s_wait_xcnt 0x0
	s_wait_loadcnt 0x0
	global_atomic_cmpswap_b64 v[10:11], v1, v[4:7], s[8:9] offset:24 th:TH_ATOMIC_RETURN scope:SCOPE_SYS
	s_wait_loadcnt 0x0
	global_inv scope:SCOPE_SYS
	v_cmp_eq_u64_e32 vcc_lo, v[10:11], v[6:7]
	s_or_b32 s11, vcc_lo, s11
	s_wait_xcnt 0x0
	s_and_not1_b32 exec_lo, exec_lo, s11
	s_cbranch_execnz .LBB4_195
; %bb.196:
	s_or_b32 exec_lo, exec_lo, s11
.LBB4_197:
	s_delay_alu instid0(SALU_CYCLE_1)
	s_or_b32 exec_lo, exec_lo, s10
.LBB4_198:
	s_delay_alu instid0(SALU_CYCLE_1)
	s_or_b32 exec_lo, exec_lo, s3
	v_readfirstlane_b32 s10, v10
	v_mov_b32_e32 v5, 0
	v_readfirstlane_b32 s11, v11
	s_mov_b32 s3, exec_lo
	s_clause 0x1
	global_load_b64 v[12:13], v5, s[8:9] offset:40
	global_load_b128 v[6:9], v5, s[8:9]
	s_wait_loadcnt 0x1
	v_and_b32_e32 v12, s10, v12
	v_and_b32_e32 v13, s11, v13
	s_delay_alu instid0(VALU_DEP_1) | instskip(SKIP_1) | instid1(VALU_DEP_1)
	v_mul_u64_e32 v[10:11], 24, v[12:13]
	s_wait_loadcnt 0x0
	v_add_nc_u64_e32 v[10:11], v[6:7], v[10:11]
	s_wait_xcnt 0x0
	s_and_saveexec_b32 s13, s2
	s_cbranch_execz .LBB4_200
; %bb.199:
	v_mov_b32_e32 v4, s3
	v_mov_b64_e32 v[16:17], 0x100000002
	s_delay_alu instid0(VALU_DEP_2)
	v_mov_b64_e32 v[14:15], v[4:5]
	global_store_b128 v[10:11], v[14:17], off offset:8
.LBB4_200:
	s_wait_xcnt 0x0
	s_or_b32 exec_lo, exec_lo, s13
	v_lshlrev_b64_e32 v[12:13], 12, v[12:13]
	s_mul_i32 s3, s12, s22
	s_mov_b32 s12, 0
	s_lshr_b32 s3, s3, 1
	s_mov_b32 s13, s12
	s_mov_b32 s14, s12
	;; [unrolled: 1-line block ×3, first 2 shown]
	v_add_nc_u64_e32 v[8:9], v[8:9], v[12:13]
	v_mov_b64_e32 v[12:13], s[12:13]
	v_mov_b64_e32 v[14:15], s[14:15]
	v_and_or_b32 v2, 0xffffff1d, v2, 34
	v_mov_b32_e32 v4, s3
	v_readfirstlane_b32 s16, v8
	v_readfirstlane_b32 s17, v9
	s_clause 0x3
	global_store_b128 v0, v[2:5], s[16:17]
	global_store_b128 v0, v[12:15], s[16:17] offset:16
	global_store_b128 v0, v[12:15], s[16:17] offset:32
	;; [unrolled: 1-line block ×3, first 2 shown]
	s_wait_xcnt 0x0
	s_and_saveexec_b32 s3, s2
	s_cbranch_execz .LBB4_208
; %bb.201:
	v_dual_mov_b32 v1, 0 :: v_dual_mov_b32 v13, s11
	s_mov_b32 s12, exec_lo
	s_clause 0x1
	global_load_b64 v[14:15], v1, s[8:9] offset:32 scope:SCOPE_SYS
	global_load_b64 v[2:3], v1, s[8:9] offset:40
	s_wait_loadcnt 0x0
	v_dual_mov_b32 v12, s10 :: v_dual_bitop2_b32 v3, s11, v3 bitop3:0x40
	v_and_b32_e32 v2, s10, v2
	s_delay_alu instid0(VALU_DEP_1) | instskip(NEXT) | instid1(VALU_DEP_1)
	v_mul_u64_e32 v[2:3], 24, v[2:3]
	v_add_nc_u64_e32 v[6:7], v[6:7], v[2:3]
	global_store_b64 v[6:7], v[14:15], off
	global_wb scope:SCOPE_SYS
	s_wait_storecnt 0x0
	s_wait_xcnt 0x0
	global_atomic_cmpswap_b64 v[4:5], v1, v[12:15], s[8:9] offset:32 th:TH_ATOMIC_RETURN scope:SCOPE_SYS
	s_wait_loadcnt 0x0
	v_cmpx_ne_u64_e64 v[4:5], v[14:15]
	s_cbranch_execz .LBB4_204
; %bb.202:
	s_mov_b32 s13, 0
.LBB4_203:                              ; =>This Inner Loop Header: Depth=1
	v_dual_mov_b32 v2, s10 :: v_dual_mov_b32 v3, s11
	s_sleep 1
	global_store_b64 v[6:7], v[4:5], off
	global_wb scope:SCOPE_SYS
	s_wait_storecnt 0x0
	s_wait_xcnt 0x0
	global_atomic_cmpswap_b64 v[2:3], v1, v[2:5], s[8:9] offset:32 th:TH_ATOMIC_RETURN scope:SCOPE_SYS
	s_wait_loadcnt 0x0
	v_cmp_eq_u64_e32 vcc_lo, v[2:3], v[4:5]
	v_mov_b64_e32 v[4:5], v[2:3]
	s_or_b32 s13, vcc_lo, s13
	s_delay_alu instid0(SALU_CYCLE_1)
	s_and_not1_b32 exec_lo, exec_lo, s13
	s_cbranch_execnz .LBB4_203
.LBB4_204:
	s_or_b32 exec_lo, exec_lo, s12
	v_mov_b32_e32 v5, 0
	s_mov_b32 s13, exec_lo
	s_mov_b32 s12, exec_lo
	v_mbcnt_lo_u32_b32 v1, s13, 0
	global_load_b64 v[2:3], v5, s[8:9] offset:16
	s_wait_xcnt 0x0
	v_cmpx_eq_u32_e32 0, v1
	s_cbranch_execz .LBB4_206
; %bb.205:
	s_bcnt1_i32_b32 s13, s13
	s_delay_alu instid0(SALU_CYCLE_1)
	v_mov_b32_e32 v4, s13
	global_wb scope:SCOPE_SYS
	s_wait_loadcnt 0x0
	s_wait_storecnt 0x0
	global_atomic_add_u64 v[2:3], v[4:5], off offset:8 scope:SCOPE_SYS
.LBB4_206:
	s_wait_xcnt 0x0
	s_or_b32 exec_lo, exec_lo, s12
	s_wait_loadcnt 0x0
	global_load_b64 v[4:5], v[2:3], off offset:16
	s_wait_loadcnt 0x0
	v_cmp_eq_u64_e32 vcc_lo, 0, v[4:5]
	s_cbranch_vccnz .LBB4_208
; %bb.207:
	global_load_b32 v2, v[2:3], off offset:24
	s_wait_xcnt 0x0
	v_mov_b32_e32 v3, 0
	s_wait_loadcnt 0x0
	v_readfirstlane_b32 s12, v2
	global_wb scope:SCOPE_SYS
	s_wait_storecnt 0x0
	global_store_b64 v[4:5], v[2:3], off scope:SCOPE_SYS
	s_and_b32 m0, s12, 0xffffff
	s_sendmsg sendmsg(MSG_INTERRUPT)
.LBB4_208:
	s_wait_xcnt 0x0
	s_or_b32 exec_lo, exec_lo, s3
	s_branch .LBB4_212
.LBB4_209:                              ;   in Loop: Header=BB4_212 Depth=1
	s_wait_xcnt 0x0
	s_or_b32 exec_lo, exec_lo, s3
	s_delay_alu instid0(VALU_DEP_1)
	v_readfirstlane_b32 s3, v1
	s_cmp_eq_u32 s3, 0
	s_cbranch_scc1 .LBB4_211
; %bb.210:                              ;   in Loop: Header=BB4_212 Depth=1
	s_sleep 1
	s_cbranch_execnz .LBB4_212
	s_branch .LBB4_214
.LBB4_211:
	s_branch .LBB4_214
.LBB4_212:                              ; =>This Inner Loop Header: Depth=1
	v_mov_b32_e32 v1, 1
	s_and_saveexec_b32 s3, s2
	s_cbranch_execz .LBB4_209
; %bb.213:                              ;   in Loop: Header=BB4_212 Depth=1
	global_load_b32 v1, v[10:11], off offset:20 scope:SCOPE_SYS
	s_wait_loadcnt 0x0
	global_inv scope:SCOPE_SYS
	v_and_b32_e32 v1, 1, v1
	s_branch .LBB4_209
.LBB4_214:
	s_and_saveexec_b32 s12, s2
	s_cbranch_execz .LBB4_218
; %bb.215:
	v_mov_b32_e32 v1, 0
	s_clause 0x2
	global_load_b64 v[2:3], v1, s[8:9] offset:40
	global_load_b64 v[10:11], v1, s[8:9] offset:24 scope:SCOPE_SYS
	global_load_b64 v[4:5], v1, s[8:9]
	s_wait_loadcnt 0x2
	v_readfirstlane_b32 s14, v2
	v_readfirstlane_b32 s15, v3
	s_add_nc_u64 s[2:3], s[14:15], 1
	s_delay_alu instid0(SALU_CYCLE_1) | instskip(NEXT) | instid1(SALU_CYCLE_1)
	s_add_nc_u64 s[10:11], s[2:3], s[10:11]
	s_cmp_eq_u64 s[10:11], 0
	s_cselect_b32 s3, s3, s11
	s_cselect_b32 s2, s2, s10
	v_mov_b32_e32 v9, s3
	s_and_b64 s[10:11], s[2:3], s[14:15]
	v_mov_b32_e32 v8, s2
	s_mul_u64 s[10:11], s[10:11], 24
	s_wait_loadcnt 0x0
	v_add_nc_u64_e32 v[6:7], s[10:11], v[4:5]
	global_store_b64 v[6:7], v[10:11], off
	global_wb scope:SCOPE_SYS
	s_wait_storecnt 0x0
	s_wait_xcnt 0x0
	global_atomic_cmpswap_b64 v[4:5], v1, v[8:11], s[8:9] offset:24 th:TH_ATOMIC_RETURN scope:SCOPE_SYS
	s_wait_loadcnt 0x0
	v_cmp_ne_u64_e32 vcc_lo, v[4:5], v[10:11]
	s_and_b32 exec_lo, exec_lo, vcc_lo
	s_cbranch_execz .LBB4_218
; %bb.216:
	s_mov_b32 s10, 0
.LBB4_217:                              ; =>This Inner Loop Header: Depth=1
	v_dual_mov_b32 v2, s2 :: v_dual_mov_b32 v3, s3
	s_sleep 1
	global_store_b64 v[6:7], v[4:5], off
	global_wb scope:SCOPE_SYS
	s_wait_storecnt 0x0
	s_wait_xcnt 0x0
	global_atomic_cmpswap_b64 v[2:3], v1, v[2:5], s[8:9] offset:24 th:TH_ATOMIC_RETURN scope:SCOPE_SYS
	s_wait_loadcnt 0x0
	v_cmp_eq_u64_e32 vcc_lo, v[2:3], v[4:5]
	v_mov_b64_e32 v[4:5], v[2:3]
	s_or_b32 s10, vcc_lo, s10
	s_delay_alu instid0(SALU_CYCLE_1)
	s_and_not1_b32 exec_lo, exec_lo, s10
	s_cbranch_execnz .LBB4_217
.LBB4_218:
	s_or_b32 exec_lo, exec_lo, s12
	v_readfirstlane_b32 s2, v29
	v_mov_b64_e32 v[6:7], 0
	s_delay_alu instid0(VALU_DEP_2)
	v_cmp_eq_u32_e64 s2, s2, v29
	s_and_saveexec_b32 s3, s2
	s_cbranch_execz .LBB4_224
; %bb.219:
	v_mov_b32_e32 v1, 0
	s_mov_b32 s10, exec_lo
	global_load_b64 v[4:5], v1, s[8:9] offset:24 scope:SCOPE_SYS
	s_wait_loadcnt 0x0
	global_inv scope:SCOPE_SYS
	s_clause 0x1
	global_load_b64 v[2:3], v1, s[8:9] offset:40
	global_load_b64 v[6:7], v1, s[8:9]
	s_wait_loadcnt 0x1
	v_and_b32_e32 v2, v2, v4
	v_and_b32_e32 v3, v3, v5
	s_delay_alu instid0(VALU_DEP_1) | instskip(SKIP_1) | instid1(VALU_DEP_1)
	v_mul_u64_e32 v[2:3], 24, v[2:3]
	s_wait_loadcnt 0x0
	v_add_nc_u64_e32 v[2:3], v[6:7], v[2:3]
	global_load_b64 v[2:3], v[2:3], off scope:SCOPE_SYS
	s_wait_xcnt 0x0
	s_wait_loadcnt 0x0
	global_atomic_cmpswap_b64 v[6:7], v1, v[2:5], s[8:9] offset:24 th:TH_ATOMIC_RETURN scope:SCOPE_SYS
	s_wait_loadcnt 0x0
	global_inv scope:SCOPE_SYS
	s_wait_xcnt 0x0
	v_cmpx_ne_u64_e64 v[6:7], v[4:5]
	s_cbranch_execz .LBB4_223
; %bb.220:
	s_mov_b32 s11, 0
.LBB4_221:                              ; =>This Inner Loop Header: Depth=1
	s_sleep 1
	s_clause 0x1
	global_load_b64 v[2:3], v1, s[8:9] offset:40
	global_load_b64 v[8:9], v1, s[8:9]
	v_mov_b64_e32 v[4:5], v[6:7]
	s_wait_loadcnt 0x1
	s_delay_alu instid0(VALU_DEP_1) | instskip(SKIP_1) | instid1(VALU_DEP_1)
	v_and_b32_e32 v2, v2, v4
	s_wait_loadcnt 0x0
	v_mad_nc_u64_u32 v[6:7], v2, 24, v[8:9]
	s_delay_alu instid0(VALU_DEP_3) | instskip(NEXT) | instid1(VALU_DEP_1)
	v_and_b32_e32 v2, v3, v5
	v_mad_u32 v7, v2, 24, v7
	global_load_b64 v[2:3], v[6:7], off scope:SCOPE_SYS
	s_wait_xcnt 0x0
	s_wait_loadcnt 0x0
	global_atomic_cmpswap_b64 v[6:7], v1, v[2:5], s[8:9] offset:24 th:TH_ATOMIC_RETURN scope:SCOPE_SYS
	s_wait_loadcnt 0x0
	global_inv scope:SCOPE_SYS
	v_cmp_eq_u64_e32 vcc_lo, v[6:7], v[4:5]
	s_or_b32 s11, vcc_lo, s11
	s_wait_xcnt 0x0
	s_and_not1_b32 exec_lo, exec_lo, s11
	s_cbranch_execnz .LBB4_221
; %bb.222:
	s_or_b32 exec_lo, exec_lo, s11
.LBB4_223:
	s_delay_alu instid0(SALU_CYCLE_1)
	s_or_b32 exec_lo, exec_lo, s10
.LBB4_224:
	s_delay_alu instid0(SALU_CYCLE_1)
	s_or_b32 exec_lo, exec_lo, s3
	v_readfirstlane_b32 s10, v6
	v_mov_b32_e32 v1, 0
	v_readfirstlane_b32 s11, v7
	s_mov_b32 s3, exec_lo
	s_clause 0x1
	global_load_b64 v[8:9], v1, s[8:9] offset:40
	global_load_b128 v[2:5], v1, s[8:9]
	s_wait_loadcnt 0x1
	v_and_b32_e32 v8, s10, v8
	v_and_b32_e32 v9, s11, v9
	s_delay_alu instid0(VALU_DEP_1) | instskip(SKIP_1) | instid1(VALU_DEP_1)
	v_mul_u64_e32 v[6:7], 24, v[8:9]
	s_wait_loadcnt 0x0
	v_add_nc_u64_e32 v[6:7], v[2:3], v[6:7]
	s_wait_xcnt 0x0
	s_and_saveexec_b32 s12, s2
	s_cbranch_execz .LBB4_226
; %bb.225:
	v_mov_b64_e32 v[12:13], 0x100000002
	v_dual_mov_b32 v10, s3 :: v_dual_mov_b32 v11, v1
	global_store_b128 v[6:7], v[10:13], off offset:8
.LBB4_226:
	s_wait_xcnt 0x0
	s_or_b32 exec_lo, exec_lo, s12
	v_lshlrev_b64_e32 v[8:9], 12, v[8:9]
	s_mov_b32 s12, 0
	v_dual_mov_b32 v10, 33 :: v_dual_mov_b32 v11, v1
	s_mov_b32 s14, s12
	s_mov_b32 s15, s12
	;; [unrolled: 1-line block ×3, first 2 shown]
	s_delay_alu instid0(VALU_DEP_2) | instskip(SKIP_3) | instid1(VALU_DEP_4)
	v_add_nc_u64_e32 v[8:9], v[4:5], v[8:9]
	v_mov_b64_e32 v[16:17], s[14:15]
	v_mov_b64_e32 v[14:15], s[12:13]
	v_dual_mov_b32 v12, v1 :: v_dual_mov_b32 v13, v1
	v_readfirstlane_b32 s16, v8
	v_readfirstlane_b32 s17, v9
	s_clause 0x3
	global_store_b128 v0, v[10:13], s[16:17]
	global_store_b128 v0, v[14:17], s[16:17] offset:16
	global_store_b128 v0, v[14:17], s[16:17] offset:32
	;; [unrolled: 1-line block ×3, first 2 shown]
	s_wait_xcnt 0x0
	s_and_saveexec_b32 s3, s2
	s_cbranch_execz .LBB4_234
; %bb.227:
	v_dual_mov_b32 v12, 0 :: v_dual_mov_b32 v15, s11
	s_mov_b32 s12, exec_lo
	s_clause 0x1
	global_load_b64 v[16:17], v12, s[8:9] offset:32 scope:SCOPE_SYS
	global_load_b64 v[4:5], v12, s[8:9] offset:40
	s_wait_loadcnt 0x0
	v_dual_mov_b32 v14, s10 :: v_dual_bitop2_b32 v5, s11, v5 bitop3:0x40
	v_and_b32_e32 v4, s10, v4
	s_delay_alu instid0(VALU_DEP_1) | instskip(NEXT) | instid1(VALU_DEP_1)
	v_mul_u64_e32 v[4:5], 24, v[4:5]
	v_add_nc_u64_e32 v[10:11], v[2:3], v[4:5]
	global_store_b64 v[10:11], v[16:17], off
	global_wb scope:SCOPE_SYS
	s_wait_storecnt 0x0
	s_wait_xcnt 0x0
	global_atomic_cmpswap_b64 v[4:5], v12, v[14:17], s[8:9] offset:32 th:TH_ATOMIC_RETURN scope:SCOPE_SYS
	s_wait_loadcnt 0x0
	v_cmpx_ne_u64_e64 v[4:5], v[16:17]
	s_cbranch_execz .LBB4_230
; %bb.228:
	s_mov_b32 s13, 0
.LBB4_229:                              ; =>This Inner Loop Header: Depth=1
	v_dual_mov_b32 v2, s10 :: v_dual_mov_b32 v3, s11
	s_sleep 1
	global_store_b64 v[10:11], v[4:5], off
	global_wb scope:SCOPE_SYS
	s_wait_storecnt 0x0
	s_wait_xcnt 0x0
	global_atomic_cmpswap_b64 v[2:3], v12, v[2:5], s[8:9] offset:32 th:TH_ATOMIC_RETURN scope:SCOPE_SYS
	s_wait_loadcnt 0x0
	v_cmp_eq_u64_e32 vcc_lo, v[2:3], v[4:5]
	v_mov_b64_e32 v[4:5], v[2:3]
	s_or_b32 s13, vcc_lo, s13
	s_delay_alu instid0(SALU_CYCLE_1)
	s_and_not1_b32 exec_lo, exec_lo, s13
	s_cbranch_execnz .LBB4_229
.LBB4_230:
	s_or_b32 exec_lo, exec_lo, s12
	v_mov_b32_e32 v5, 0
	s_mov_b32 s13, exec_lo
	s_mov_b32 s12, exec_lo
	v_mbcnt_lo_u32_b32 v4, s13, 0
	global_load_b64 v[2:3], v5, s[8:9] offset:16
	s_wait_xcnt 0x0
	v_cmpx_eq_u32_e32 0, v4
	s_cbranch_execz .LBB4_232
; %bb.231:
	s_bcnt1_i32_b32 s13, s13
	s_delay_alu instid0(SALU_CYCLE_1)
	v_mov_b32_e32 v4, s13
	global_wb scope:SCOPE_SYS
	s_wait_loadcnt 0x0
	s_wait_storecnt 0x0
	global_atomic_add_u64 v[2:3], v[4:5], off offset:8 scope:SCOPE_SYS
.LBB4_232:
	s_wait_xcnt 0x0
	s_or_b32 exec_lo, exec_lo, s12
	s_wait_loadcnt 0x0
	global_load_b64 v[4:5], v[2:3], off offset:16
	s_wait_loadcnt 0x0
	v_cmp_eq_u64_e32 vcc_lo, 0, v[4:5]
	s_cbranch_vccnz .LBB4_234
; %bb.233:
	global_load_b32 v2, v[2:3], off offset:24
	s_wait_xcnt 0x0
	v_mov_b32_e32 v3, 0
	s_wait_loadcnt 0x0
	v_readfirstlane_b32 s12, v2
	global_wb scope:SCOPE_SYS
	s_wait_storecnt 0x0
	global_store_b64 v[4:5], v[2:3], off scope:SCOPE_SYS
	s_and_b32 m0, s12, 0xffffff
	s_sendmsg sendmsg(MSG_INTERRUPT)
.LBB4_234:
	s_wait_xcnt 0x0
	s_or_b32 exec_lo, exec_lo, s3
	v_add_nc_u64_e32 v[2:3], v[8:9], v[0:1]
	s_branch .LBB4_238
.LBB4_235:                              ;   in Loop: Header=BB4_238 Depth=1
	s_wait_xcnt 0x0
	s_or_b32 exec_lo, exec_lo, s3
	s_delay_alu instid0(VALU_DEP_1)
	v_readfirstlane_b32 s3, v1
	s_cmp_eq_u32 s3, 0
	s_cbranch_scc1 .LBB4_237
; %bb.236:                              ;   in Loop: Header=BB4_238 Depth=1
	s_sleep 1
	s_cbranch_execnz .LBB4_238
	s_branch .LBB4_240
.LBB4_237:
	s_branch .LBB4_240
.LBB4_238:                              ; =>This Inner Loop Header: Depth=1
	v_mov_b32_e32 v1, 1
	s_and_saveexec_b32 s3, s2
	s_cbranch_execz .LBB4_235
; %bb.239:                              ;   in Loop: Header=BB4_238 Depth=1
	global_load_b32 v1, v[6:7], off offset:20 scope:SCOPE_SYS
	s_wait_loadcnt 0x0
	global_inv scope:SCOPE_SYS
	v_and_b32_e32 v1, 1, v1
	s_branch .LBB4_235
.LBB4_240:
	global_load_b64 v[2:3], v[2:3], off
	s_wait_xcnt 0x0
	s_and_saveexec_b32 s12, s2
	s_cbranch_execz .LBB4_244
; %bb.241:
	v_mov_b32_e32 v1, 0
	s_clause 0x2
	global_load_b64 v[4:5], v1, s[8:9] offset:40
	global_load_b64 v[12:13], v1, s[8:9] offset:24 scope:SCOPE_SYS
	global_load_b64 v[6:7], v1, s[8:9]
	s_wait_loadcnt 0x2
	v_readfirstlane_b32 s14, v4
	v_readfirstlane_b32 s15, v5
	s_add_nc_u64 s[2:3], s[14:15], 1
	s_delay_alu instid0(SALU_CYCLE_1) | instskip(NEXT) | instid1(SALU_CYCLE_1)
	s_add_nc_u64 s[10:11], s[2:3], s[10:11]
	s_cmp_eq_u64 s[10:11], 0
	s_cselect_b32 s3, s3, s11
	s_cselect_b32 s2, s2, s10
	v_mov_b32_e32 v11, s3
	s_and_b64 s[10:11], s[2:3], s[14:15]
	v_mov_b32_e32 v10, s2
	s_mul_u64 s[10:11], s[10:11], 24
	s_wait_loadcnt 0x0
	v_add_nc_u64_e32 v[8:9], s[10:11], v[6:7]
	global_store_b64 v[8:9], v[12:13], off
	global_wb scope:SCOPE_SYS
	s_wait_storecnt 0x0
	s_wait_xcnt 0x0
	global_atomic_cmpswap_b64 v[6:7], v1, v[10:13], s[8:9] offset:24 th:TH_ATOMIC_RETURN scope:SCOPE_SYS
	s_wait_loadcnt 0x0
	v_cmp_ne_u64_e32 vcc_lo, v[6:7], v[12:13]
	s_and_b32 exec_lo, exec_lo, vcc_lo
	s_cbranch_execz .LBB4_244
; %bb.242:
	s_mov_b32 s10, 0
.LBB4_243:                              ; =>This Inner Loop Header: Depth=1
	v_dual_mov_b32 v4, s2 :: v_dual_mov_b32 v5, s3
	s_sleep 1
	global_store_b64 v[8:9], v[6:7], off
	global_wb scope:SCOPE_SYS
	s_wait_storecnt 0x0
	s_wait_xcnt 0x0
	global_atomic_cmpswap_b64 v[4:5], v1, v[4:7], s[8:9] offset:24 th:TH_ATOMIC_RETURN scope:SCOPE_SYS
	s_wait_loadcnt 0x0
	v_cmp_eq_u64_e32 vcc_lo, v[4:5], v[6:7]
	v_mov_b64_e32 v[6:7], v[4:5]
	s_or_b32 s10, vcc_lo, s10
	s_delay_alu instid0(SALU_CYCLE_1)
	s_and_not1_b32 exec_lo, exec_lo, s10
	s_cbranch_execnz .LBB4_243
.LBB4_244:
	s_or_b32 exec_lo, exec_lo, s12
	s_get_pc_i64 s[10:11]
	s_add_nc_u64 s[10:11], s[10:11], .str.1@rel64+4
	s_delay_alu instid0(SALU_CYCLE_1)
	s_cmp_lg_u64 s[10:11], 0
	s_cbranch_scc0 .LBB4_323
; %bb.245:
	v_mov_b64_e32 v[10:11], 0x100000002
	s_wait_loadcnt 0x0
	v_dual_mov_b32 v9, 0 :: v_dual_bitop2_b32 v30, 2, v2 bitop3:0x40
	v_dual_mov_b32 v5, v3 :: v_dual_bitop2_b32 v4, -3, v2 bitop3:0x40
	s_mov_b64 s[12:13], 48
	s_branch .LBB4_247
.LBB4_246:                              ;   in Loop: Header=BB4_247 Depth=1
	s_or_b32 exec_lo, exec_lo, s18
	s_sub_nc_u64 s[12:13], s[12:13], s[14:15]
	s_add_nc_u64 s[10:11], s[10:11], s[14:15]
	s_cmp_lg_u64 s[12:13], 0
	s_cbranch_scc0 .LBB4_322
.LBB4_247:                              ; =>This Loop Header: Depth=1
                                        ;     Child Loop BB4_250 Depth 2
                                        ;     Child Loop BB4_257 Depth 2
	;; [unrolled: 1-line block ×11, first 2 shown]
	v_min_u64 v[6:7], s[12:13], 56
	v_cmp_gt_u64_e64 s2, s[12:13], 7
	s_and_b32 vcc_lo, exec_lo, s2
	v_readfirstlane_b32 s14, v6
	v_readfirstlane_b32 s15, v7
	s_cbranch_vccnz .LBB4_252
; %bb.248:                              ;   in Loop: Header=BB4_247 Depth=1
	v_mov_b64_e32 v[6:7], 0
	s_cmp_eq_u64 s[12:13], 0
	s_cbranch_scc1 .LBB4_251
; %bb.249:                              ;   in Loop: Header=BB4_247 Depth=1
	s_mov_b64 s[2:3], 0
	s_mov_b64 s[16:17], 0
.LBB4_250:                              ;   Parent Loop BB4_247 Depth=1
                                        ; =>  This Inner Loop Header: Depth=2
	s_wait_xcnt 0x0
	s_add_nc_u64 s[18:19], s[10:11], s[16:17]
	s_add_nc_u64 s[16:17], s[16:17], 1
	global_load_u8 v1, v9, s[18:19]
	s_cmp_lg_u32 s14, s16
	s_wait_loadcnt 0x0
	v_and_b32_e32 v8, 0xffff, v1
	s_delay_alu instid0(VALU_DEP_1) | instskip(SKIP_1) | instid1(VALU_DEP_1)
	v_lshlrev_b64_e32 v[12:13], s2, v[8:9]
	s_add_nc_u64 s[2:3], s[2:3], 8
	v_or_b32_e32 v6, v12, v6
	s_delay_alu instid0(VALU_DEP_2)
	v_or_b32_e32 v7, v13, v7
	s_cbranch_scc1 .LBB4_250
.LBB4_251:                              ;   in Loop: Header=BB4_247 Depth=1
	s_mov_b64 s[16:17], s[10:11]
	s_mov_b32 s20, 0
	s_cbranch_execz .LBB4_253
	s_branch .LBB4_254
.LBB4_252:                              ;   in Loop: Header=BB4_247 Depth=1
	s_add_nc_u64 s[16:17], s[10:11], 8
	s_mov_b32 s20, 0
.LBB4_253:                              ;   in Loop: Header=BB4_247 Depth=1
	global_load_b64 v[6:7], v9, s[10:11]
	s_add_co_i32 s20, s14, -8
.LBB4_254:                              ;   in Loop: Header=BB4_247 Depth=1
	s_delay_alu instid0(SALU_CYCLE_1)
	s_cmp_gt_u32 s20, 7
	s_cbranch_scc1 .LBB4_259
; %bb.255:                              ;   in Loop: Header=BB4_247 Depth=1
	v_mov_b64_e32 v[12:13], 0
	s_cmp_eq_u32 s20, 0
	s_cbranch_scc1 .LBB4_258
; %bb.256:                              ;   in Loop: Header=BB4_247 Depth=1
	s_mov_b64 s[2:3], 0
	s_wait_xcnt 0x0
	s_mov_b64 s[18:19], 0
.LBB4_257:                              ;   Parent Loop BB4_247 Depth=1
                                        ; =>  This Inner Loop Header: Depth=2
	s_wait_xcnt 0x0
	s_add_nc_u64 s[24:25], s[16:17], s[18:19]
	s_add_nc_u64 s[18:19], s[18:19], 1
	global_load_u8 v1, v9, s[24:25]
	s_cmp_lg_u32 s20, s18
	s_wait_loadcnt 0x0
	v_and_b32_e32 v8, 0xffff, v1
	s_delay_alu instid0(VALU_DEP_1) | instskip(SKIP_1) | instid1(VALU_DEP_1)
	v_lshlrev_b64_e32 v[14:15], s2, v[8:9]
	s_add_nc_u64 s[2:3], s[2:3], 8
	v_or_b32_e32 v12, v14, v12
	s_delay_alu instid0(VALU_DEP_2)
	v_or_b32_e32 v13, v15, v13
	s_cbranch_scc1 .LBB4_257
.LBB4_258:                              ;   in Loop: Header=BB4_247 Depth=1
	s_wait_xcnt 0x0
	s_mov_b64 s[2:3], s[16:17]
	s_mov_b32 s21, 0
	s_cbranch_execz .LBB4_260
	s_branch .LBB4_261
.LBB4_259:                              ;   in Loop: Header=BB4_247 Depth=1
	s_add_nc_u64 s[2:3], s[16:17], 8
	s_wait_xcnt 0x0
                                        ; implicit-def: $vgpr12_vgpr13
	s_mov_b32 s21, 0
.LBB4_260:                              ;   in Loop: Header=BB4_247 Depth=1
	global_load_b64 v[12:13], v9, s[16:17]
	s_add_co_i32 s21, s20, -8
.LBB4_261:                              ;   in Loop: Header=BB4_247 Depth=1
	s_delay_alu instid0(SALU_CYCLE_1)
	s_cmp_gt_u32 s21, 7
	s_cbranch_scc1 .LBB4_266
; %bb.262:                              ;   in Loop: Header=BB4_247 Depth=1
	v_mov_b64_e32 v[14:15], 0
	s_cmp_eq_u32 s21, 0
	s_cbranch_scc1 .LBB4_265
; %bb.263:                              ;   in Loop: Header=BB4_247 Depth=1
	s_wait_xcnt 0x0
	s_mov_b64 s[16:17], 0
	s_mov_b64 s[18:19], 0
.LBB4_264:                              ;   Parent Loop BB4_247 Depth=1
                                        ; =>  This Inner Loop Header: Depth=2
	s_wait_xcnt 0x0
	s_add_nc_u64 s[24:25], s[2:3], s[18:19]
	s_add_nc_u64 s[18:19], s[18:19], 1
	global_load_u8 v1, v9, s[24:25]
	s_cmp_lg_u32 s21, s18
	s_wait_loadcnt 0x0
	v_and_b32_e32 v8, 0xffff, v1
	s_delay_alu instid0(VALU_DEP_1) | instskip(SKIP_1) | instid1(VALU_DEP_1)
	v_lshlrev_b64_e32 v[16:17], s16, v[8:9]
	s_add_nc_u64 s[16:17], s[16:17], 8
	v_or_b32_e32 v14, v16, v14
	s_delay_alu instid0(VALU_DEP_2)
	v_or_b32_e32 v15, v17, v15
	s_cbranch_scc1 .LBB4_264
.LBB4_265:                              ;   in Loop: Header=BB4_247 Depth=1
	s_wait_xcnt 0x0
	s_mov_b64 s[16:17], s[2:3]
	s_mov_b32 s20, 0
	s_cbranch_execz .LBB4_267
	s_branch .LBB4_268
.LBB4_266:                              ;   in Loop: Header=BB4_247 Depth=1
	s_wait_xcnt 0x0
	s_add_nc_u64 s[16:17], s[2:3], 8
	s_mov_b32 s20, 0
.LBB4_267:                              ;   in Loop: Header=BB4_247 Depth=1
	global_load_b64 v[14:15], v9, s[2:3]
	s_add_co_i32 s20, s21, -8
.LBB4_268:                              ;   in Loop: Header=BB4_247 Depth=1
	s_delay_alu instid0(SALU_CYCLE_1)
	s_cmp_gt_u32 s20, 7
	s_cbranch_scc1 .LBB4_273
; %bb.269:                              ;   in Loop: Header=BB4_247 Depth=1
	v_mov_b64_e32 v[16:17], 0
	s_cmp_eq_u32 s20, 0
	s_cbranch_scc1 .LBB4_272
; %bb.270:                              ;   in Loop: Header=BB4_247 Depth=1
	s_wait_xcnt 0x0
	s_mov_b64 s[2:3], 0
	s_mov_b64 s[18:19], 0
.LBB4_271:                              ;   Parent Loop BB4_247 Depth=1
                                        ; =>  This Inner Loop Header: Depth=2
	s_wait_xcnt 0x0
	s_add_nc_u64 s[24:25], s[16:17], s[18:19]
	s_add_nc_u64 s[18:19], s[18:19], 1
	global_load_u8 v1, v9, s[24:25]
	s_cmp_lg_u32 s20, s18
	s_wait_loadcnt 0x0
	v_and_b32_e32 v8, 0xffff, v1
	s_delay_alu instid0(VALU_DEP_1) | instskip(SKIP_1) | instid1(VALU_DEP_1)
	v_lshlrev_b64_e32 v[18:19], s2, v[8:9]
	s_add_nc_u64 s[2:3], s[2:3], 8
	v_or_b32_e32 v16, v18, v16
	s_delay_alu instid0(VALU_DEP_2)
	v_or_b32_e32 v17, v19, v17
	s_cbranch_scc1 .LBB4_271
.LBB4_272:                              ;   in Loop: Header=BB4_247 Depth=1
	s_wait_xcnt 0x0
	s_mov_b64 s[2:3], s[16:17]
	s_mov_b32 s21, 0
	s_cbranch_execz .LBB4_274
	s_branch .LBB4_275
.LBB4_273:                              ;   in Loop: Header=BB4_247 Depth=1
	s_wait_xcnt 0x0
	s_add_nc_u64 s[2:3], s[16:17], 8
                                        ; implicit-def: $vgpr16_vgpr17
	s_mov_b32 s21, 0
.LBB4_274:                              ;   in Loop: Header=BB4_247 Depth=1
	global_load_b64 v[16:17], v9, s[16:17]
	s_add_co_i32 s21, s20, -8
.LBB4_275:                              ;   in Loop: Header=BB4_247 Depth=1
	s_delay_alu instid0(SALU_CYCLE_1)
	s_cmp_gt_u32 s21, 7
	s_cbranch_scc1 .LBB4_280
; %bb.276:                              ;   in Loop: Header=BB4_247 Depth=1
	v_mov_b64_e32 v[18:19], 0
	s_cmp_eq_u32 s21, 0
	s_cbranch_scc1 .LBB4_279
; %bb.277:                              ;   in Loop: Header=BB4_247 Depth=1
	s_wait_xcnt 0x0
	s_mov_b64 s[16:17], 0
	s_mov_b64 s[18:19], 0
.LBB4_278:                              ;   Parent Loop BB4_247 Depth=1
                                        ; =>  This Inner Loop Header: Depth=2
	s_wait_xcnt 0x0
	s_add_nc_u64 s[24:25], s[2:3], s[18:19]
	s_add_nc_u64 s[18:19], s[18:19], 1
	global_load_u8 v1, v9, s[24:25]
	s_cmp_lg_u32 s21, s18
	s_wait_loadcnt 0x0
	v_and_b32_e32 v8, 0xffff, v1
	s_delay_alu instid0(VALU_DEP_1) | instskip(SKIP_1) | instid1(VALU_DEP_1)
	v_lshlrev_b64_e32 v[20:21], s16, v[8:9]
	s_add_nc_u64 s[16:17], s[16:17], 8
	v_or_b32_e32 v18, v20, v18
	s_delay_alu instid0(VALU_DEP_2)
	v_or_b32_e32 v19, v21, v19
	s_cbranch_scc1 .LBB4_278
.LBB4_279:                              ;   in Loop: Header=BB4_247 Depth=1
	s_wait_xcnt 0x0
	s_mov_b64 s[16:17], s[2:3]
	s_mov_b32 s20, 0
	s_cbranch_execz .LBB4_281
	s_branch .LBB4_282
.LBB4_280:                              ;   in Loop: Header=BB4_247 Depth=1
	s_wait_xcnt 0x0
	s_add_nc_u64 s[16:17], s[2:3], 8
	s_mov_b32 s20, 0
.LBB4_281:                              ;   in Loop: Header=BB4_247 Depth=1
	global_load_b64 v[18:19], v9, s[2:3]
	s_add_co_i32 s20, s21, -8
.LBB4_282:                              ;   in Loop: Header=BB4_247 Depth=1
	s_delay_alu instid0(SALU_CYCLE_1)
	s_cmp_gt_u32 s20, 7
	s_cbranch_scc1 .LBB4_287
; %bb.283:                              ;   in Loop: Header=BB4_247 Depth=1
	v_mov_b64_e32 v[20:21], 0
	s_cmp_eq_u32 s20, 0
	s_cbranch_scc1 .LBB4_286
; %bb.284:                              ;   in Loop: Header=BB4_247 Depth=1
	s_wait_xcnt 0x0
	s_mov_b64 s[2:3], 0
	s_mov_b64 s[18:19], 0
.LBB4_285:                              ;   Parent Loop BB4_247 Depth=1
                                        ; =>  This Inner Loop Header: Depth=2
	s_wait_xcnt 0x0
	s_add_nc_u64 s[24:25], s[16:17], s[18:19]
	s_add_nc_u64 s[18:19], s[18:19], 1
	global_load_u8 v1, v9, s[24:25]
	s_cmp_lg_u32 s20, s18
	s_wait_loadcnt 0x0
	v_and_b32_e32 v8, 0xffff, v1
	s_delay_alu instid0(VALU_DEP_1) | instskip(SKIP_1) | instid1(VALU_DEP_1)
	v_lshlrev_b64_e32 v[22:23], s2, v[8:9]
	s_add_nc_u64 s[2:3], s[2:3], 8
	v_or_b32_e32 v20, v22, v20
	s_delay_alu instid0(VALU_DEP_2)
	v_or_b32_e32 v21, v23, v21
	s_cbranch_scc1 .LBB4_285
.LBB4_286:                              ;   in Loop: Header=BB4_247 Depth=1
	s_wait_xcnt 0x0
	s_mov_b64 s[2:3], s[16:17]
	s_mov_b32 s21, 0
	s_cbranch_execz .LBB4_288
	s_branch .LBB4_289
.LBB4_287:                              ;   in Loop: Header=BB4_247 Depth=1
	s_wait_xcnt 0x0
	s_add_nc_u64 s[2:3], s[16:17], 8
                                        ; implicit-def: $vgpr20_vgpr21
	s_mov_b32 s21, 0
.LBB4_288:                              ;   in Loop: Header=BB4_247 Depth=1
	global_load_b64 v[20:21], v9, s[16:17]
	s_add_co_i32 s21, s20, -8
.LBB4_289:                              ;   in Loop: Header=BB4_247 Depth=1
	s_delay_alu instid0(SALU_CYCLE_1)
	s_cmp_gt_u32 s21, 7
	s_cbranch_scc1 .LBB4_294
; %bb.290:                              ;   in Loop: Header=BB4_247 Depth=1
	v_mov_b64_e32 v[22:23], 0
	s_cmp_eq_u32 s21, 0
	s_cbranch_scc1 .LBB4_293
; %bb.291:                              ;   in Loop: Header=BB4_247 Depth=1
	s_wait_xcnt 0x0
	s_mov_b64 s[16:17], 0
	s_mov_b64 s[18:19], s[2:3]
.LBB4_292:                              ;   Parent Loop BB4_247 Depth=1
                                        ; =>  This Inner Loop Header: Depth=2
	global_load_u8 v1, v9, s[18:19]
	s_add_co_i32 s21, s21, -1
	s_wait_xcnt 0x0
	s_add_nc_u64 s[18:19], s[18:19], 1
	s_cmp_lg_u32 s21, 0
	s_wait_loadcnt 0x0
	v_and_b32_e32 v8, 0xffff, v1
	s_delay_alu instid0(VALU_DEP_1) | instskip(SKIP_1) | instid1(VALU_DEP_1)
	v_lshlrev_b64_e32 v[24:25], s16, v[8:9]
	s_add_nc_u64 s[16:17], s[16:17], 8
	v_or_b32_e32 v22, v24, v22
	s_delay_alu instid0(VALU_DEP_2)
	v_or_b32_e32 v23, v25, v23
	s_cbranch_scc1 .LBB4_292
.LBB4_293:                              ;   in Loop: Header=BB4_247 Depth=1
	s_wait_xcnt 0x0
	s_cbranch_execz .LBB4_295
	s_branch .LBB4_296
.LBB4_294:                              ;   in Loop: Header=BB4_247 Depth=1
	s_wait_xcnt 0x0
.LBB4_295:                              ;   in Loop: Header=BB4_247 Depth=1
	global_load_b64 v[22:23], v9, s[2:3]
.LBB4_296:                              ;   in Loop: Header=BB4_247 Depth=1
	s_wait_xcnt 0x0
	v_readfirstlane_b32 s2, v29
	v_mov_b64_e32 v[32:33], 0
	s_delay_alu instid0(VALU_DEP_2)
	v_cmp_eq_u32_e64 s2, s2, v29
	s_and_saveexec_b32 s3, s2
	s_cbranch_execz .LBB4_302
; %bb.297:                              ;   in Loop: Header=BB4_247 Depth=1
	global_load_b64 v[26:27], v9, s[8:9] offset:24 scope:SCOPE_SYS
	s_wait_loadcnt 0x0
	global_inv scope:SCOPE_SYS
	s_clause 0x1
	global_load_b64 v[24:25], v9, s[8:9] offset:40
	global_load_b64 v[32:33], v9, s[8:9]
	s_mov_b32 s16, exec_lo
	s_wait_loadcnt 0x1
	v_and_b32_e32 v24, v24, v26
	v_and_b32_e32 v25, v25, v27
	s_delay_alu instid0(VALU_DEP_1) | instskip(SKIP_1) | instid1(VALU_DEP_1)
	v_mul_u64_e32 v[24:25], 24, v[24:25]
	s_wait_loadcnt 0x0
	v_add_nc_u64_e32 v[24:25], v[32:33], v[24:25]
	global_load_b64 v[24:25], v[24:25], off scope:SCOPE_SYS
	s_wait_xcnt 0x0
	s_wait_loadcnt 0x0
	global_atomic_cmpswap_b64 v[32:33], v9, v[24:27], s[8:9] offset:24 th:TH_ATOMIC_RETURN scope:SCOPE_SYS
	s_wait_loadcnt 0x0
	global_inv scope:SCOPE_SYS
	s_wait_xcnt 0x0
	v_cmpx_ne_u64_e64 v[32:33], v[26:27]
	s_cbranch_execz .LBB4_301
; %bb.298:                              ;   in Loop: Header=BB4_247 Depth=1
	s_mov_b32 s17, 0
.LBB4_299:                              ;   Parent Loop BB4_247 Depth=1
                                        ; =>  This Inner Loop Header: Depth=2
	s_sleep 1
	s_clause 0x1
	global_load_b64 v[24:25], v9, s[8:9] offset:40
	global_load_b64 v[34:35], v9, s[8:9]
	v_mov_b64_e32 v[26:27], v[32:33]
	s_wait_loadcnt 0x1
	s_delay_alu instid0(VALU_DEP_1) | instskip(SKIP_1) | instid1(VALU_DEP_1)
	v_and_b32_e32 v1, v24, v26
	s_wait_loadcnt 0x0
	v_mad_nc_u64_u32 v[32:33], v1, 24, v[34:35]
	s_delay_alu instid0(VALU_DEP_3) | instskip(NEXT) | instid1(VALU_DEP_1)
	v_and_b32_e32 v1, v25, v27
	v_mad_u32 v33, v1, 24, v33
	global_load_b64 v[24:25], v[32:33], off scope:SCOPE_SYS
	s_wait_xcnt 0x0
	s_wait_loadcnt 0x0
	global_atomic_cmpswap_b64 v[32:33], v9, v[24:27], s[8:9] offset:24 th:TH_ATOMIC_RETURN scope:SCOPE_SYS
	s_wait_loadcnt 0x0
	global_inv scope:SCOPE_SYS
	v_cmp_eq_u64_e32 vcc_lo, v[32:33], v[26:27]
	s_or_b32 s17, vcc_lo, s17
	s_wait_xcnt 0x0
	s_and_not1_b32 exec_lo, exec_lo, s17
	s_cbranch_execnz .LBB4_299
; %bb.300:                              ;   in Loop: Header=BB4_247 Depth=1
	s_or_b32 exec_lo, exec_lo, s17
.LBB4_301:                              ;   in Loop: Header=BB4_247 Depth=1
	s_delay_alu instid0(SALU_CYCLE_1)
	s_or_b32 exec_lo, exec_lo, s16
.LBB4_302:                              ;   in Loop: Header=BB4_247 Depth=1
	s_delay_alu instid0(SALU_CYCLE_1)
	s_or_b32 exec_lo, exec_lo, s3
	s_clause 0x1
	global_load_b64 v[34:35], v9, s[8:9] offset:40
	global_load_b128 v[24:27], v9, s[8:9]
	v_readfirstlane_b32 s16, v32
	v_readfirstlane_b32 s17, v33
	s_mov_b32 s3, exec_lo
	s_wait_loadcnt 0x1
	v_and_b32_e32 v34, s16, v34
	v_and_b32_e32 v35, s17, v35
	s_delay_alu instid0(VALU_DEP_1) | instskip(SKIP_1) | instid1(VALU_DEP_1)
	v_mul_u64_e32 v[32:33], 24, v[34:35]
	s_wait_loadcnt 0x0
	v_add_nc_u64_e32 v[32:33], v[24:25], v[32:33]
	s_wait_xcnt 0x0
	s_and_saveexec_b32 s18, s2
	s_cbranch_execz .LBB4_304
; %bb.303:                              ;   in Loop: Header=BB4_247 Depth=1
	v_mov_b32_e32 v8, s3
	global_store_b128 v[32:33], v[8:11], off offset:8
.LBB4_304:                              ;   in Loop: Header=BB4_247 Depth=1
	s_wait_xcnt 0x0
	s_or_b32 exec_lo, exec_lo, s18
	v_cmp_lt_u64_e64 vcc_lo, s[12:13], 57
	v_lshlrev_b64_e32 v[34:35], 12, v[34:35]
	v_and_b32_e32 v4, 0xffffff1f, v4
	s_lshl_b32 s3, s14, 2
	s_delay_alu instid0(SALU_CYCLE_1) | instskip(SKIP_1) | instid1(VALU_DEP_3)
	s_add_co_i32 s3, s3, 28
	v_cndmask_b32_e32 v1, 0, v30, vcc_lo
	v_add_nc_u64_e32 v[26:27], v[26:27], v[34:35]
	s_delay_alu instid0(VALU_DEP_2) | instskip(NEXT) | instid1(VALU_DEP_2)
	v_or_b32_e32 v1, v4, v1
	v_readfirstlane_b32 s18, v26
	s_delay_alu instid0(VALU_DEP_3) | instskip(NEXT) | instid1(VALU_DEP_3)
	v_readfirstlane_b32 s19, v27
	v_and_or_b32 v4, 0x1e0, s3, v1
	s_clause 0x3
	global_store_b128 v0, v[4:7], s[18:19]
	global_store_b128 v0, v[12:15], s[18:19] offset:16
	global_store_b128 v0, v[16:19], s[18:19] offset:32
	;; [unrolled: 1-line block ×3, first 2 shown]
	s_wait_xcnt 0x0
	s_and_saveexec_b32 s3, s2
	s_cbranch_execz .LBB4_312
; %bb.305:                              ;   in Loop: Header=BB4_247 Depth=1
	s_clause 0x1
	global_load_b64 v[16:17], v9, s[8:9] offset:32 scope:SCOPE_SYS
	global_load_b64 v[4:5], v9, s[8:9] offset:40
	s_mov_b32 s18, exec_lo
	v_dual_mov_b32 v14, s16 :: v_dual_mov_b32 v15, s17
	s_wait_loadcnt 0x0
	v_and_b32_e32 v5, s17, v5
	v_and_b32_e32 v4, s16, v4
	s_delay_alu instid0(VALU_DEP_1) | instskip(NEXT) | instid1(VALU_DEP_1)
	v_mul_u64_e32 v[4:5], 24, v[4:5]
	v_add_nc_u64_e32 v[12:13], v[24:25], v[4:5]
	global_store_b64 v[12:13], v[16:17], off
	global_wb scope:SCOPE_SYS
	s_wait_storecnt 0x0
	s_wait_xcnt 0x0
	global_atomic_cmpswap_b64 v[6:7], v9, v[14:17], s[8:9] offset:32 th:TH_ATOMIC_RETURN scope:SCOPE_SYS
	s_wait_loadcnt 0x0
	v_cmpx_ne_u64_e64 v[6:7], v[16:17]
	s_cbranch_execz .LBB4_308
; %bb.306:                              ;   in Loop: Header=BB4_247 Depth=1
	s_mov_b32 s19, 0
.LBB4_307:                              ;   Parent Loop BB4_247 Depth=1
                                        ; =>  This Inner Loop Header: Depth=2
	v_dual_mov_b32 v4, s16 :: v_dual_mov_b32 v5, s17
	s_sleep 1
	global_store_b64 v[12:13], v[6:7], off
	global_wb scope:SCOPE_SYS
	s_wait_storecnt 0x0
	s_wait_xcnt 0x0
	global_atomic_cmpswap_b64 v[4:5], v9, v[4:7], s[8:9] offset:32 th:TH_ATOMIC_RETURN scope:SCOPE_SYS
	s_wait_loadcnt 0x0
	v_cmp_eq_u64_e32 vcc_lo, v[4:5], v[6:7]
	v_mov_b64_e32 v[6:7], v[4:5]
	s_or_b32 s19, vcc_lo, s19
	s_delay_alu instid0(SALU_CYCLE_1)
	s_and_not1_b32 exec_lo, exec_lo, s19
	s_cbranch_execnz .LBB4_307
.LBB4_308:                              ;   in Loop: Header=BB4_247 Depth=1
	s_or_b32 exec_lo, exec_lo, s18
	global_load_b64 v[4:5], v9, s[8:9] offset:16
	s_mov_b32 s19, exec_lo
	s_mov_b32 s18, exec_lo
	v_mbcnt_lo_u32_b32 v1, s19, 0
	s_wait_xcnt 0x0
	s_delay_alu instid0(VALU_DEP_1)
	v_cmpx_eq_u32_e32 0, v1
	s_cbranch_execz .LBB4_310
; %bb.309:                              ;   in Loop: Header=BB4_247 Depth=1
	s_bcnt1_i32_b32 s19, s19
	s_delay_alu instid0(SALU_CYCLE_1)
	v_mov_b32_e32 v8, s19
	global_wb scope:SCOPE_SYS
	s_wait_loadcnt 0x0
	s_wait_storecnt 0x0
	global_atomic_add_u64 v[4:5], v[8:9], off offset:8 scope:SCOPE_SYS
.LBB4_310:                              ;   in Loop: Header=BB4_247 Depth=1
	s_wait_xcnt 0x0
	s_or_b32 exec_lo, exec_lo, s18
	s_wait_loadcnt 0x0
	global_load_b64 v[6:7], v[4:5], off offset:16
	s_wait_loadcnt 0x0
	v_cmp_eq_u64_e32 vcc_lo, 0, v[6:7]
	s_cbranch_vccnz .LBB4_312
; %bb.311:                              ;   in Loop: Header=BB4_247 Depth=1
	global_load_b32 v8, v[4:5], off offset:24
	s_wait_loadcnt 0x0
	v_readfirstlane_b32 s18, v8
	global_wb scope:SCOPE_SYS
	s_wait_storecnt 0x0
	s_wait_xcnt 0x0
	global_store_b64 v[6:7], v[8:9], off scope:SCOPE_SYS
	s_and_b32 m0, s18, 0xffffff
	s_sendmsg sendmsg(MSG_INTERRUPT)
.LBB4_312:                              ;   in Loop: Header=BB4_247 Depth=1
	s_wait_xcnt 0x0
	s_or_b32 exec_lo, exec_lo, s3
	v_mov_b32_e32 v1, v9
	s_delay_alu instid0(VALU_DEP_1)
	v_add_nc_u64_e32 v[4:5], v[26:27], v[0:1]
	s_branch .LBB4_316
.LBB4_313:                              ;   in Loop: Header=BB4_316 Depth=2
	s_wait_xcnt 0x0
	s_or_b32 exec_lo, exec_lo, s3
	s_delay_alu instid0(VALU_DEP_1)
	v_readfirstlane_b32 s3, v1
	s_cmp_eq_u32 s3, 0
	s_cbranch_scc1 .LBB4_315
; %bb.314:                              ;   in Loop: Header=BB4_316 Depth=2
	s_sleep 1
	s_cbranch_execnz .LBB4_316
	s_branch .LBB4_318
.LBB4_315:                              ;   in Loop: Header=BB4_247 Depth=1
	s_branch .LBB4_318
.LBB4_316:                              ;   Parent Loop BB4_247 Depth=1
                                        ; =>  This Inner Loop Header: Depth=2
	v_mov_b32_e32 v1, 1
	s_and_saveexec_b32 s3, s2
	s_cbranch_execz .LBB4_313
; %bb.317:                              ;   in Loop: Header=BB4_316 Depth=2
	global_load_b32 v1, v[32:33], off offset:20 scope:SCOPE_SYS
	s_wait_loadcnt 0x0
	global_inv scope:SCOPE_SYS
	v_and_b32_e32 v1, 1, v1
	s_branch .LBB4_313
.LBB4_318:                              ;   in Loop: Header=BB4_247 Depth=1
	global_load_b64 v[4:5], v[4:5], off
	s_wait_xcnt 0x0
	s_and_saveexec_b32 s18, s2
	s_cbranch_execz .LBB4_246
; %bb.319:                              ;   in Loop: Header=BB4_247 Depth=1
	s_clause 0x2
	global_load_b64 v[6:7], v9, s[8:9] offset:40
	global_load_b64 v[16:17], v9, s[8:9] offset:24 scope:SCOPE_SYS
	global_load_b64 v[12:13], v9, s[8:9]
	s_wait_loadcnt 0x2
	v_readfirstlane_b32 s20, v6
	v_readfirstlane_b32 s21, v7
	s_add_nc_u64 s[2:3], s[20:21], 1
	s_delay_alu instid0(SALU_CYCLE_1) | instskip(NEXT) | instid1(SALU_CYCLE_1)
	s_add_nc_u64 s[16:17], s[2:3], s[16:17]
	s_cmp_eq_u64 s[16:17], 0
	s_cselect_b32 s3, s3, s17
	s_cselect_b32 s2, s2, s16
	s_delay_alu instid0(SALU_CYCLE_1) | instskip(SKIP_1) | instid1(SALU_CYCLE_1)
	v_dual_mov_b32 v15, s3 :: v_dual_mov_b32 v14, s2
	s_and_b64 s[16:17], s[2:3], s[20:21]
	s_mul_u64 s[16:17], s[16:17], 24
	s_wait_loadcnt 0x0
	v_add_nc_u64_e32 v[6:7], s[16:17], v[12:13]
	global_store_b64 v[6:7], v[16:17], off
	global_wb scope:SCOPE_SYS
	s_wait_storecnt 0x0
	s_wait_xcnt 0x0
	global_atomic_cmpswap_b64 v[14:15], v9, v[14:17], s[8:9] offset:24 th:TH_ATOMIC_RETURN scope:SCOPE_SYS
	s_wait_loadcnt 0x0
	v_cmp_ne_u64_e32 vcc_lo, v[14:15], v[16:17]
	s_and_b32 exec_lo, exec_lo, vcc_lo
	s_cbranch_execz .LBB4_246
; %bb.320:                              ;   in Loop: Header=BB4_247 Depth=1
	s_mov_b32 s16, 0
.LBB4_321:                              ;   Parent Loop BB4_247 Depth=1
                                        ; =>  This Inner Loop Header: Depth=2
	v_dual_mov_b32 v12, s2 :: v_dual_mov_b32 v13, s3
	s_sleep 1
	global_store_b64 v[6:7], v[14:15], off
	global_wb scope:SCOPE_SYS
	s_wait_storecnt 0x0
	s_wait_xcnt 0x0
	global_atomic_cmpswap_b64 v[12:13], v9, v[12:15], s[8:9] offset:24 th:TH_ATOMIC_RETURN scope:SCOPE_SYS
	s_wait_loadcnt 0x0
	v_cmp_eq_u64_e32 vcc_lo, v[12:13], v[14:15]
	v_mov_b64_e32 v[14:15], v[12:13]
	s_or_b32 s16, vcc_lo, s16
	s_delay_alu instid0(SALU_CYCLE_1)
	s_and_not1_b32 exec_lo, exec_lo, s16
	s_cbranch_execnz .LBB4_321
	s_branch .LBB4_246
.LBB4_322:
	s_branch .LBB4_351
.LBB4_323:
                                        ; implicit-def: $vgpr4_vgpr5
	s_cbranch_execz .LBB4_351
; %bb.324:
	v_readfirstlane_b32 s2, v29
	s_wait_loadcnt 0x0
	v_mov_b64_e32 v[4:5], 0
	s_delay_alu instid0(VALU_DEP_2)
	v_cmp_eq_u32_e64 s2, s2, v29
	s_and_saveexec_b32 s3, s2
	s_cbranch_execz .LBB4_330
; %bb.325:
	v_mov_b32_e32 v1, 0
	s_mov_b32 s10, exec_lo
	global_load_b64 v[6:7], v1, s[8:9] offset:24 scope:SCOPE_SYS
	s_wait_loadcnt 0x0
	global_inv scope:SCOPE_SYS
	s_clause 0x1
	global_load_b64 v[4:5], v1, s[8:9] offset:40
	global_load_b64 v[8:9], v1, s[8:9]
	s_wait_loadcnt 0x1
	v_and_b32_e32 v4, v4, v6
	v_and_b32_e32 v5, v5, v7
	s_delay_alu instid0(VALU_DEP_1) | instskip(SKIP_1) | instid1(VALU_DEP_1)
	v_mul_u64_e32 v[4:5], 24, v[4:5]
	s_wait_loadcnt 0x0
	v_add_nc_u64_e32 v[4:5], v[8:9], v[4:5]
	global_load_b64 v[4:5], v[4:5], off scope:SCOPE_SYS
	s_wait_xcnt 0x0
	s_wait_loadcnt 0x0
	global_atomic_cmpswap_b64 v[4:5], v1, v[4:7], s[8:9] offset:24 th:TH_ATOMIC_RETURN scope:SCOPE_SYS
	s_wait_loadcnt 0x0
	global_inv scope:SCOPE_SYS
	s_wait_xcnt 0x0
	v_cmpx_ne_u64_e64 v[4:5], v[6:7]
	s_cbranch_execz .LBB4_329
; %bb.326:
	s_mov_b32 s11, 0
.LBB4_327:                              ; =>This Inner Loop Header: Depth=1
	s_sleep 1
	s_clause 0x1
	global_load_b64 v[8:9], v1, s[8:9] offset:40
	global_load_b64 v[10:11], v1, s[8:9]
	v_mov_b64_e32 v[6:7], v[4:5]
	s_wait_loadcnt 0x1
	s_delay_alu instid0(VALU_DEP_1) | instskip(NEXT) | instid1(VALU_DEP_2)
	v_and_b32_e32 v4, v8, v6
	v_and_b32_e32 v8, v9, v7
	s_wait_loadcnt 0x0
	s_delay_alu instid0(VALU_DEP_2) | instskip(NEXT) | instid1(VALU_DEP_1)
	v_mad_nc_u64_u32 v[4:5], v4, 24, v[10:11]
	v_mad_u32 v5, v8, 24, v5
	global_load_b64 v[4:5], v[4:5], off scope:SCOPE_SYS
	s_wait_xcnt 0x0
	s_wait_loadcnt 0x0
	global_atomic_cmpswap_b64 v[4:5], v1, v[4:7], s[8:9] offset:24 th:TH_ATOMIC_RETURN scope:SCOPE_SYS
	s_wait_loadcnt 0x0
	global_inv scope:SCOPE_SYS
	v_cmp_eq_u64_e32 vcc_lo, v[4:5], v[6:7]
	s_or_b32 s11, vcc_lo, s11
	s_wait_xcnt 0x0
	s_and_not1_b32 exec_lo, exec_lo, s11
	s_cbranch_execnz .LBB4_327
; %bb.328:
	s_or_b32 exec_lo, exec_lo, s11
.LBB4_329:
	s_delay_alu instid0(SALU_CYCLE_1)
	s_or_b32 exec_lo, exec_lo, s10
.LBB4_330:
	s_delay_alu instid0(SALU_CYCLE_1)
	s_or_b32 exec_lo, exec_lo, s3
	v_readfirstlane_b32 s10, v4
	v_mov_b32_e32 v1, 0
	v_readfirstlane_b32 s11, v5
	s_mov_b32 s3, exec_lo
	s_clause 0x1
	global_load_b64 v[10:11], v1, s[8:9] offset:40
	global_load_b128 v[6:9], v1, s[8:9]
	s_wait_loadcnt 0x1
	v_and_b32_e32 v4, s10, v10
	v_and_b32_e32 v5, s11, v11
	s_delay_alu instid0(VALU_DEP_1) | instskip(SKIP_1) | instid1(VALU_DEP_1)
	v_mul_u64_e32 v[10:11], 24, v[4:5]
	s_wait_loadcnt 0x0
	v_add_nc_u64_e32 v[10:11], v[6:7], v[10:11]
	s_wait_xcnt 0x0
	s_and_saveexec_b32 s12, s2
	s_cbranch_execz .LBB4_332
; %bb.331:
	v_mov_b64_e32 v[14:15], 0x100000002
	v_dual_mov_b32 v12, s3 :: v_dual_mov_b32 v13, v1
	global_store_b128 v[10:11], v[12:15], off offset:8
.LBB4_332:
	s_wait_xcnt 0x0
	s_or_b32 exec_lo, exec_lo, s12
	v_lshlrev_b64_e32 v[4:5], 12, v[4:5]
	s_mov_b32 s12, 0
	v_and_or_b32 v2, 0xffffff1f, v2, 32
	s_mov_b32 s13, s12
	s_mov_b32 s14, s12
	;; [unrolled: 1-line block ×3, first 2 shown]
	v_mov_b64_e32 v[12:13], s[12:13]
	v_add_nc_u64_e32 v[8:9], v[8:9], v[4:5]
	v_mov_b64_e32 v[14:15], s[14:15]
	v_dual_mov_b32 v4, v1 :: v_dual_mov_b32 v5, v1
	s_delay_alu instid0(VALU_DEP_3) | instskip(NEXT) | instid1(VALU_DEP_4)
	v_readfirstlane_b32 s16, v8
	v_readfirstlane_b32 s17, v9
	s_clause 0x3
	global_store_b128 v0, v[2:5], s[16:17]
	global_store_b128 v0, v[12:15], s[16:17] offset:16
	global_store_b128 v0, v[12:15], s[16:17] offset:32
	;; [unrolled: 1-line block ×3, first 2 shown]
	s_wait_xcnt 0x0
	s_and_saveexec_b32 s3, s2
	s_cbranch_execz .LBB4_340
; %bb.333:
	v_dual_mov_b32 v12, 0 :: v_dual_mov_b32 v15, s11
	s_mov_b32 s12, exec_lo
	s_clause 0x1
	global_load_b64 v[16:17], v12, s[8:9] offset:32 scope:SCOPE_SYS
	global_load_b64 v[2:3], v12, s[8:9] offset:40
	s_wait_loadcnt 0x0
	v_dual_mov_b32 v14, s10 :: v_dual_bitop2_b32 v3, s11, v3 bitop3:0x40
	v_and_b32_e32 v2, s10, v2
	s_delay_alu instid0(VALU_DEP_1) | instskip(NEXT) | instid1(VALU_DEP_1)
	v_mul_u64_e32 v[2:3], 24, v[2:3]
	v_add_nc_u64_e32 v[6:7], v[6:7], v[2:3]
	global_store_b64 v[6:7], v[16:17], off
	global_wb scope:SCOPE_SYS
	s_wait_storecnt 0x0
	s_wait_xcnt 0x0
	global_atomic_cmpswap_b64 v[4:5], v12, v[14:17], s[8:9] offset:32 th:TH_ATOMIC_RETURN scope:SCOPE_SYS
	s_wait_loadcnt 0x0
	v_cmpx_ne_u64_e64 v[4:5], v[16:17]
	s_cbranch_execz .LBB4_336
; %bb.334:
	s_mov_b32 s13, 0
.LBB4_335:                              ; =>This Inner Loop Header: Depth=1
	v_dual_mov_b32 v2, s10 :: v_dual_mov_b32 v3, s11
	s_sleep 1
	global_store_b64 v[6:7], v[4:5], off
	global_wb scope:SCOPE_SYS
	s_wait_storecnt 0x0
	s_wait_xcnt 0x0
	global_atomic_cmpswap_b64 v[2:3], v12, v[2:5], s[8:9] offset:32 th:TH_ATOMIC_RETURN scope:SCOPE_SYS
	s_wait_loadcnt 0x0
	v_cmp_eq_u64_e32 vcc_lo, v[2:3], v[4:5]
	v_mov_b64_e32 v[4:5], v[2:3]
	s_or_b32 s13, vcc_lo, s13
	s_delay_alu instid0(SALU_CYCLE_1)
	s_and_not1_b32 exec_lo, exec_lo, s13
	s_cbranch_execnz .LBB4_335
.LBB4_336:
	s_or_b32 exec_lo, exec_lo, s12
	v_mov_b32_e32 v5, 0
	s_mov_b32 s13, exec_lo
	s_mov_b32 s12, exec_lo
	v_mbcnt_lo_u32_b32 v4, s13, 0
	global_load_b64 v[2:3], v5, s[8:9] offset:16
	s_wait_xcnt 0x0
	v_cmpx_eq_u32_e32 0, v4
	s_cbranch_execz .LBB4_338
; %bb.337:
	s_bcnt1_i32_b32 s13, s13
	s_delay_alu instid0(SALU_CYCLE_1)
	v_mov_b32_e32 v4, s13
	global_wb scope:SCOPE_SYS
	s_wait_loadcnt 0x0
	s_wait_storecnt 0x0
	global_atomic_add_u64 v[2:3], v[4:5], off offset:8 scope:SCOPE_SYS
.LBB4_338:
	s_wait_xcnt 0x0
	s_or_b32 exec_lo, exec_lo, s12
	s_wait_loadcnt 0x0
	global_load_b64 v[4:5], v[2:3], off offset:16
	s_wait_loadcnt 0x0
	v_cmp_eq_u64_e32 vcc_lo, 0, v[4:5]
	s_cbranch_vccnz .LBB4_340
; %bb.339:
	global_load_b32 v2, v[2:3], off offset:24
	s_wait_xcnt 0x0
	v_mov_b32_e32 v3, 0
	s_wait_loadcnt 0x0
	v_readfirstlane_b32 s12, v2
	global_wb scope:SCOPE_SYS
	s_wait_storecnt 0x0
	global_store_b64 v[4:5], v[2:3], off scope:SCOPE_SYS
	s_and_b32 m0, s12, 0xffffff
	s_sendmsg sendmsg(MSG_INTERRUPT)
.LBB4_340:
	s_wait_xcnt 0x0
	s_or_b32 exec_lo, exec_lo, s3
	v_add_nc_u64_e32 v[2:3], v[8:9], v[0:1]
	s_branch .LBB4_344
.LBB4_341:                              ;   in Loop: Header=BB4_344 Depth=1
	s_wait_xcnt 0x0
	s_or_b32 exec_lo, exec_lo, s3
	s_delay_alu instid0(VALU_DEP_1)
	v_readfirstlane_b32 s3, v1
	s_cmp_eq_u32 s3, 0
	s_cbranch_scc1 .LBB4_343
; %bb.342:                              ;   in Loop: Header=BB4_344 Depth=1
	s_sleep 1
	s_cbranch_execnz .LBB4_344
	s_branch .LBB4_346
.LBB4_343:
	s_branch .LBB4_346
.LBB4_344:                              ; =>This Inner Loop Header: Depth=1
	v_mov_b32_e32 v1, 1
	s_and_saveexec_b32 s3, s2
	s_cbranch_execz .LBB4_341
; %bb.345:                              ;   in Loop: Header=BB4_344 Depth=1
	global_load_b32 v1, v[10:11], off offset:20 scope:SCOPE_SYS
	s_wait_loadcnt 0x0
	global_inv scope:SCOPE_SYS
	v_and_b32_e32 v1, 1, v1
	s_branch .LBB4_341
.LBB4_346:
	global_load_b64 v[4:5], v[2:3], off
	s_wait_xcnt 0x0
	s_and_saveexec_b32 s12, s2
	s_cbranch_execz .LBB4_350
; %bb.347:
	v_mov_b32_e32 v1, 0
	s_clause 0x2
	global_load_b64 v[2:3], v1, s[8:9] offset:40
	global_load_b64 v[10:11], v1, s[8:9] offset:24 scope:SCOPE_SYS
	global_load_b64 v[6:7], v1, s[8:9]
	s_wait_loadcnt 0x2
	v_readfirstlane_b32 s14, v2
	v_readfirstlane_b32 s15, v3
	s_add_nc_u64 s[2:3], s[14:15], 1
	s_delay_alu instid0(SALU_CYCLE_1) | instskip(NEXT) | instid1(SALU_CYCLE_1)
	s_add_nc_u64 s[10:11], s[2:3], s[10:11]
	s_cmp_eq_u64 s[10:11], 0
	s_cselect_b32 s3, s3, s11
	s_cselect_b32 s2, s2, s10
	v_mov_b32_e32 v9, s3
	s_and_b64 s[10:11], s[2:3], s[14:15]
	v_mov_b32_e32 v8, s2
	s_mul_u64 s[10:11], s[10:11], 24
	s_wait_loadcnt 0x0
	v_add_nc_u64_e32 v[2:3], s[10:11], v[6:7]
	global_store_b64 v[2:3], v[10:11], off
	global_wb scope:SCOPE_SYS
	s_wait_storecnt 0x0
	s_wait_xcnt 0x0
	global_atomic_cmpswap_b64 v[8:9], v1, v[8:11], s[8:9] offset:24 th:TH_ATOMIC_RETURN scope:SCOPE_SYS
	s_wait_loadcnt 0x0
	v_cmp_ne_u64_e32 vcc_lo, v[8:9], v[10:11]
	s_and_b32 exec_lo, exec_lo, vcc_lo
	s_cbranch_execz .LBB4_350
; %bb.348:
	s_mov_b32 s10, 0
.LBB4_349:                              ; =>This Inner Loop Header: Depth=1
	v_dual_mov_b32 v6, s2 :: v_dual_mov_b32 v7, s3
	s_sleep 1
	global_store_b64 v[2:3], v[8:9], off
	global_wb scope:SCOPE_SYS
	s_wait_storecnt 0x0
	s_wait_xcnt 0x0
	global_atomic_cmpswap_b64 v[6:7], v1, v[6:9], s[8:9] offset:24 th:TH_ATOMIC_RETURN scope:SCOPE_SYS
	s_wait_loadcnt 0x0
	v_cmp_eq_u64_e32 vcc_lo, v[6:7], v[8:9]
	v_mov_b64_e32 v[8:9], v[6:7]
	s_or_b32 s10, vcc_lo, s10
	s_delay_alu instid0(SALU_CYCLE_1)
	s_and_not1_b32 exec_lo, exec_lo, s10
	s_cbranch_execnz .LBB4_349
.LBB4_350:
	s_or_b32 exec_lo, exec_lo, s12
.LBB4_351:
	v_readfirstlane_b32 s2, v29
	s_wait_loadcnt 0x0
	v_mov_b64_e32 v[2:3], 0
	s_delay_alu instid0(VALU_DEP_2)
	v_cmp_eq_u32_e64 s2, s2, v29
	s_and_saveexec_b32 s3, s2
	s_cbranch_execz .LBB4_357
; %bb.352:
	v_mov_b32_e32 v1, 0
	s_mov_b32 s10, exec_lo
	global_load_b64 v[8:9], v1, s[8:9] offset:24 scope:SCOPE_SYS
	s_wait_loadcnt 0x0
	global_inv scope:SCOPE_SYS
	s_clause 0x1
	global_load_b64 v[2:3], v1, s[8:9] offset:40
	global_load_b64 v[6:7], v1, s[8:9]
	s_wait_loadcnt 0x1
	v_and_b32_e32 v2, v2, v8
	v_and_b32_e32 v3, v3, v9
	s_delay_alu instid0(VALU_DEP_1) | instskip(SKIP_1) | instid1(VALU_DEP_1)
	v_mul_u64_e32 v[2:3], 24, v[2:3]
	s_wait_loadcnt 0x0
	v_add_nc_u64_e32 v[2:3], v[6:7], v[2:3]
	global_load_b64 v[6:7], v[2:3], off scope:SCOPE_SYS
	s_wait_xcnt 0x0
	s_wait_loadcnt 0x0
	global_atomic_cmpswap_b64 v[2:3], v1, v[6:9], s[8:9] offset:24 th:TH_ATOMIC_RETURN scope:SCOPE_SYS
	s_wait_loadcnt 0x0
	global_inv scope:SCOPE_SYS
	s_wait_xcnt 0x0
	v_cmpx_ne_u64_e64 v[2:3], v[8:9]
	s_cbranch_execz .LBB4_356
; %bb.353:
	s_mov_b32 s11, 0
.LBB4_354:                              ; =>This Inner Loop Header: Depth=1
	s_sleep 1
	s_clause 0x1
	global_load_b64 v[6:7], v1, s[8:9] offset:40
	global_load_b64 v[10:11], v1, s[8:9]
	v_mov_b64_e32 v[8:9], v[2:3]
	s_wait_loadcnt 0x1
	s_delay_alu instid0(VALU_DEP_1) | instskip(NEXT) | instid1(VALU_DEP_2)
	v_and_b32_e32 v2, v6, v8
	v_and_b32_e32 v6, v7, v9
	s_wait_loadcnt 0x0
	s_delay_alu instid0(VALU_DEP_2) | instskip(NEXT) | instid1(VALU_DEP_1)
	v_mad_nc_u64_u32 v[2:3], v2, 24, v[10:11]
	v_mad_u32 v3, v6, 24, v3
	global_load_b64 v[6:7], v[2:3], off scope:SCOPE_SYS
	s_wait_xcnt 0x0
	s_wait_loadcnt 0x0
	global_atomic_cmpswap_b64 v[2:3], v1, v[6:9], s[8:9] offset:24 th:TH_ATOMIC_RETURN scope:SCOPE_SYS
	s_wait_loadcnt 0x0
	global_inv scope:SCOPE_SYS
	v_cmp_eq_u64_e32 vcc_lo, v[2:3], v[8:9]
	s_or_b32 s11, vcc_lo, s11
	s_wait_xcnt 0x0
	s_and_not1_b32 exec_lo, exec_lo, s11
	s_cbranch_execnz .LBB4_354
; %bb.355:
	s_or_b32 exec_lo, exec_lo, s11
.LBB4_356:
	s_delay_alu instid0(SALU_CYCLE_1)
	s_or_b32 exec_lo, exec_lo, s10
.LBB4_357:
	s_delay_alu instid0(SALU_CYCLE_1)
	s_or_b32 exec_lo, exec_lo, s3
	v_readfirstlane_b32 s10, v2
	v_mov_b32_e32 v1, 0
	v_readfirstlane_b32 s11, v3
	s_mov_b32 s3, exec_lo
	s_clause 0x1
	global_load_b64 v[6:7], v1, s[8:9] offset:40
	global_load_b128 v[8:11], v1, s[8:9]
	s_wait_loadcnt 0x1
	v_and_b32_e32 v2, s10, v6
	v_and_b32_e32 v3, s11, v7
	s_delay_alu instid0(VALU_DEP_1) | instskip(SKIP_1) | instid1(VALU_DEP_1)
	v_mul_u64_e32 v[6:7], 24, v[2:3]
	s_wait_loadcnt 0x0
	v_add_nc_u64_e32 v[12:13], v[8:9], v[6:7]
	s_wait_xcnt 0x0
	s_and_saveexec_b32 s12, s2
	s_cbranch_execz .LBB4_359
; %bb.358:
	v_mov_b64_e32 v[16:17], 0x100000002
	v_dual_mov_b32 v14, s3 :: v_dual_mov_b32 v15, v1
	global_store_b128 v[12:13], v[14:17], off offset:8
.LBB4_359:
	s_wait_xcnt 0x0
	s_or_b32 exec_lo, exec_lo, s12
	v_lshlrev_b64_e32 v[2:3], 12, v[2:3]
	s_mov_b32 s12, 0
	s_lshr_b32 s3, s22, 3
	s_mov_b32 s14, s12
	s_mov_b32 s15, s12
	;; [unrolled: 1-line block ×3, first 2 shown]
	v_mov_b64_e32 v[16:17], s[14:15]
	v_add_nc_u64_e32 v[10:11], v[10:11], v[2:3]
	v_mov_b64_e32 v[14:15], s[12:13]
	v_and_or_b32 v4, 0xffffff1f, v4, 32
	v_dual_mov_b32 v7, v1 :: v_dual_mov_b32 v6, s3
	s_delay_alu instid0(VALU_DEP_4)
	v_readfirstlane_b32 s16, v10
	v_readfirstlane_b32 s17, v11
	s_clause 0x3
	global_store_b128 v0, v[4:7], s[16:17]
	global_store_b128 v0, v[14:17], s[16:17] offset:16
	global_store_b128 v0, v[14:17], s[16:17] offset:32
	;; [unrolled: 1-line block ×3, first 2 shown]
	s_wait_xcnt 0x0
	s_and_saveexec_b32 s3, s2
	s_cbranch_execz .LBB4_367
; %bb.360:
	v_dual_mov_b32 v14, 0 :: v_dual_mov_b32 v17, s11
	s_mov_b32 s12, exec_lo
	s_clause 0x1
	global_load_b64 v[18:19], v14, s[8:9] offset:32 scope:SCOPE_SYS
	global_load_b64 v[2:3], v14, s[8:9] offset:40
	s_wait_loadcnt 0x0
	v_dual_mov_b32 v16, s10 :: v_dual_bitop2_b32 v3, s11, v3 bitop3:0x40
	v_and_b32_e32 v2, s10, v2
	s_delay_alu instid0(VALU_DEP_1) | instskip(NEXT) | instid1(VALU_DEP_1)
	v_mul_u64_e32 v[2:3], 24, v[2:3]
	v_add_nc_u64_e32 v[6:7], v[8:9], v[2:3]
	global_store_b64 v[6:7], v[18:19], off
	global_wb scope:SCOPE_SYS
	s_wait_storecnt 0x0
	s_wait_xcnt 0x0
	global_atomic_cmpswap_b64 v[4:5], v14, v[16:19], s[8:9] offset:32 th:TH_ATOMIC_RETURN scope:SCOPE_SYS
	s_wait_loadcnt 0x0
	v_cmpx_ne_u64_e64 v[4:5], v[18:19]
	s_cbranch_execz .LBB4_363
; %bb.361:
	s_mov_b32 s13, 0
.LBB4_362:                              ; =>This Inner Loop Header: Depth=1
	v_dual_mov_b32 v2, s10 :: v_dual_mov_b32 v3, s11
	s_sleep 1
	global_store_b64 v[6:7], v[4:5], off
	global_wb scope:SCOPE_SYS
	s_wait_storecnt 0x0
	s_wait_xcnt 0x0
	global_atomic_cmpswap_b64 v[2:3], v14, v[2:5], s[8:9] offset:32 th:TH_ATOMIC_RETURN scope:SCOPE_SYS
	s_wait_loadcnt 0x0
	v_cmp_eq_u64_e32 vcc_lo, v[2:3], v[4:5]
	v_mov_b64_e32 v[4:5], v[2:3]
	s_or_b32 s13, vcc_lo, s13
	s_delay_alu instid0(SALU_CYCLE_1)
	s_and_not1_b32 exec_lo, exec_lo, s13
	s_cbranch_execnz .LBB4_362
.LBB4_363:
	s_or_b32 exec_lo, exec_lo, s12
	v_mov_b32_e32 v5, 0
	s_mov_b32 s13, exec_lo
	s_mov_b32 s12, exec_lo
	v_mbcnt_lo_u32_b32 v4, s13, 0
	global_load_b64 v[2:3], v5, s[8:9] offset:16
	s_wait_xcnt 0x0
	v_cmpx_eq_u32_e32 0, v4
	s_cbranch_execz .LBB4_365
; %bb.364:
	s_bcnt1_i32_b32 s13, s13
	s_delay_alu instid0(SALU_CYCLE_1)
	v_mov_b32_e32 v4, s13
	global_wb scope:SCOPE_SYS
	s_wait_loadcnt 0x0
	s_wait_storecnt 0x0
	global_atomic_add_u64 v[2:3], v[4:5], off offset:8 scope:SCOPE_SYS
.LBB4_365:
	s_wait_xcnt 0x0
	s_or_b32 exec_lo, exec_lo, s12
	s_wait_loadcnt 0x0
	global_load_b64 v[4:5], v[2:3], off offset:16
	s_wait_loadcnt 0x0
	v_cmp_eq_u64_e32 vcc_lo, 0, v[4:5]
	s_cbranch_vccnz .LBB4_367
; %bb.366:
	global_load_b32 v2, v[2:3], off offset:24
	s_wait_xcnt 0x0
	v_mov_b32_e32 v3, 0
	s_wait_loadcnt 0x0
	v_readfirstlane_b32 s12, v2
	global_wb scope:SCOPE_SYS
	s_wait_storecnt 0x0
	global_store_b64 v[4:5], v[2:3], off scope:SCOPE_SYS
	s_and_b32 m0, s12, 0xffffff
	s_sendmsg sendmsg(MSG_INTERRUPT)
.LBB4_367:
	s_wait_xcnt 0x0
	s_or_b32 exec_lo, exec_lo, s3
	v_add_nc_u64_e32 v[2:3], v[10:11], v[0:1]
	s_branch .LBB4_371
.LBB4_368:                              ;   in Loop: Header=BB4_371 Depth=1
	s_wait_xcnt 0x0
	s_or_b32 exec_lo, exec_lo, s3
	s_delay_alu instid0(VALU_DEP_1)
	v_readfirstlane_b32 s3, v1
	s_cmp_eq_u32 s3, 0
	s_cbranch_scc1 .LBB4_370
; %bb.369:                              ;   in Loop: Header=BB4_371 Depth=1
	s_sleep 1
	s_cbranch_execnz .LBB4_371
	s_branch .LBB4_373
.LBB4_370:
	s_branch .LBB4_373
.LBB4_371:                              ; =>This Inner Loop Header: Depth=1
	v_mov_b32_e32 v1, 1
	s_and_saveexec_b32 s3, s2
	s_cbranch_execz .LBB4_368
; %bb.372:                              ;   in Loop: Header=BB4_371 Depth=1
	global_load_b32 v1, v[12:13], off offset:20 scope:SCOPE_SYS
	s_wait_loadcnt 0x0
	global_inv scope:SCOPE_SYS
	v_and_b32_e32 v1, 1, v1
	s_branch .LBB4_368
.LBB4_373:
	global_load_b64 v[2:3], v[2:3], off
	s_wait_xcnt 0x0
	s_and_saveexec_b32 s12, s2
	s_cbranch_execz .LBB4_377
; %bb.374:
	v_mov_b32_e32 v1, 0
	s_clause 0x2
	global_load_b64 v[4:5], v1, s[8:9] offset:40
	global_load_b64 v[12:13], v1, s[8:9] offset:24 scope:SCOPE_SYS
	global_load_b64 v[6:7], v1, s[8:9]
	s_wait_loadcnt 0x2
	v_readfirstlane_b32 s14, v4
	v_readfirstlane_b32 s15, v5
	s_add_nc_u64 s[2:3], s[14:15], 1
	s_delay_alu instid0(SALU_CYCLE_1) | instskip(NEXT) | instid1(SALU_CYCLE_1)
	s_add_nc_u64 s[10:11], s[2:3], s[10:11]
	s_cmp_eq_u64 s[10:11], 0
	s_cselect_b32 s3, s3, s11
	s_cselect_b32 s2, s2, s10
	v_mov_b32_e32 v11, s3
	s_and_b64 s[10:11], s[2:3], s[14:15]
	v_mov_b32_e32 v10, s2
	s_mul_u64 s[10:11], s[10:11], 24
	s_wait_loadcnt 0x0
	v_add_nc_u64_e32 v[8:9], s[10:11], v[6:7]
	global_store_b64 v[8:9], v[12:13], off
	global_wb scope:SCOPE_SYS
	s_wait_storecnt 0x0
	s_wait_xcnt 0x0
	global_atomic_cmpswap_b64 v[6:7], v1, v[10:13], s[8:9] offset:24 th:TH_ATOMIC_RETURN scope:SCOPE_SYS
	s_wait_loadcnt 0x0
	v_cmp_ne_u64_e32 vcc_lo, v[6:7], v[12:13]
	s_and_b32 exec_lo, exec_lo, vcc_lo
	s_cbranch_execz .LBB4_377
; %bb.375:
	s_mov_b32 s10, 0
.LBB4_376:                              ; =>This Inner Loop Header: Depth=1
	v_dual_mov_b32 v4, s2 :: v_dual_mov_b32 v5, s3
	s_sleep 1
	global_store_b64 v[8:9], v[6:7], off
	global_wb scope:SCOPE_SYS
	s_wait_storecnt 0x0
	s_wait_xcnt 0x0
	global_atomic_cmpswap_b64 v[4:5], v1, v[4:7], s[8:9] offset:24 th:TH_ATOMIC_RETURN scope:SCOPE_SYS
	s_wait_loadcnt 0x0
	v_cmp_eq_u64_e32 vcc_lo, v[4:5], v[6:7]
	v_mov_b64_e32 v[6:7], v[4:5]
	s_or_b32 s10, vcc_lo, s10
	s_delay_alu instid0(SALU_CYCLE_1)
	s_and_not1_b32 exec_lo, exec_lo, s10
	s_cbranch_execnz .LBB4_376
.LBB4_377:
	s_or_b32 exec_lo, exec_lo, s12
	v_readfirstlane_b32 s2, v29
	v_mov_b64_e32 v[10:11], 0
	s_delay_alu instid0(VALU_DEP_2)
	v_cmp_eq_u32_e64 s2, s2, v29
	s_and_saveexec_b32 s3, s2
	s_cbranch_execz .LBB4_383
; %bb.378:
	v_mov_b32_e32 v1, 0
	s_mov_b32 s10, exec_lo
	global_load_b64 v[6:7], v1, s[8:9] offset:24 scope:SCOPE_SYS
	s_wait_loadcnt 0x0
	global_inv scope:SCOPE_SYS
	s_clause 0x1
	global_load_b64 v[4:5], v1, s[8:9] offset:40
	global_load_b64 v[8:9], v1, s[8:9]
	s_wait_loadcnt 0x1
	v_and_b32_e32 v4, v4, v6
	v_and_b32_e32 v5, v5, v7
	s_delay_alu instid0(VALU_DEP_1) | instskip(SKIP_1) | instid1(VALU_DEP_1)
	v_mul_u64_e32 v[4:5], 24, v[4:5]
	s_wait_loadcnt 0x0
	v_add_nc_u64_e32 v[4:5], v[8:9], v[4:5]
	global_load_b64 v[4:5], v[4:5], off scope:SCOPE_SYS
	s_wait_xcnt 0x0
	s_wait_loadcnt 0x0
	global_atomic_cmpswap_b64 v[10:11], v1, v[4:7], s[8:9] offset:24 th:TH_ATOMIC_RETURN scope:SCOPE_SYS
	s_wait_loadcnt 0x0
	global_inv scope:SCOPE_SYS
	s_wait_xcnt 0x0
	v_cmpx_ne_u64_e64 v[10:11], v[6:7]
	s_cbranch_execz .LBB4_382
; %bb.379:
	s_mov_b32 s11, 0
.LBB4_380:                              ; =>This Inner Loop Header: Depth=1
	s_sleep 1
	s_clause 0x1
	global_load_b64 v[4:5], v1, s[8:9] offset:40
	global_load_b64 v[8:9], v1, s[8:9]
	v_mov_b64_e32 v[6:7], v[10:11]
	s_wait_loadcnt 0x1
	s_delay_alu instid0(VALU_DEP_1) | instskip(SKIP_1) | instid1(VALU_DEP_1)
	v_and_b32_e32 v4, v4, v6
	s_wait_loadcnt 0x0
	v_mad_nc_u64_u32 v[8:9], v4, 24, v[8:9]
	s_delay_alu instid0(VALU_DEP_3) | instskip(NEXT) | instid1(VALU_DEP_1)
	v_and_b32_e32 v4, v5, v7
	v_mad_u32 v9, v4, 24, v9
	global_load_b64 v[4:5], v[8:9], off scope:SCOPE_SYS
	s_wait_xcnt 0x0
	s_wait_loadcnt 0x0
	global_atomic_cmpswap_b64 v[10:11], v1, v[4:7], s[8:9] offset:24 th:TH_ATOMIC_RETURN scope:SCOPE_SYS
	s_wait_loadcnt 0x0
	global_inv scope:SCOPE_SYS
	v_cmp_eq_u64_e32 vcc_lo, v[10:11], v[6:7]
	s_or_b32 s11, vcc_lo, s11
	s_wait_xcnt 0x0
	s_and_not1_b32 exec_lo, exec_lo, s11
	s_cbranch_execnz .LBB4_380
; %bb.381:
	s_or_b32 exec_lo, exec_lo, s11
.LBB4_382:
	s_delay_alu instid0(SALU_CYCLE_1)
	s_or_b32 exec_lo, exec_lo, s10
.LBB4_383:
	s_delay_alu instid0(SALU_CYCLE_1)
	s_or_b32 exec_lo, exec_lo, s3
	v_readfirstlane_b32 s10, v10
	v_mov_b32_e32 v5, 0
	v_readfirstlane_b32 s11, v11
	s_mov_b32 s3, exec_lo
	s_clause 0x1
	global_load_b64 v[12:13], v5, s[8:9] offset:40
	global_load_b128 v[6:9], v5, s[8:9]
	s_wait_loadcnt 0x1
	v_and_b32_e32 v12, s10, v12
	v_and_b32_e32 v13, s11, v13
	s_delay_alu instid0(VALU_DEP_1) | instskip(SKIP_1) | instid1(VALU_DEP_1)
	v_mul_u64_e32 v[10:11], 24, v[12:13]
	s_wait_loadcnt 0x0
	v_add_nc_u64_e32 v[10:11], v[6:7], v[10:11]
	s_wait_xcnt 0x0
	s_and_saveexec_b32 s12, s2
	s_cbranch_execz .LBB4_385
; %bb.384:
	v_mov_b32_e32 v4, s3
	v_mov_b64_e32 v[16:17], 0x100000002
	s_delay_alu instid0(VALU_DEP_2)
	v_mov_b64_e32 v[14:15], v[4:5]
	global_store_b128 v[10:11], v[14:17], off offset:8
.LBB4_385:
	s_wait_xcnt 0x0
	s_or_b32 exec_lo, exec_lo, s12
	v_lshlrev_b64_e32 v[12:13], 12, v[12:13]
	s_mov_b32 s12, 0
	v_and_or_b32 v2, 0xffffff1d, v2, 34
	s_mov_b32 s13, s12
	s_mov_b32 s14, s12
	;; [unrolled: 1-line block ×3, first 2 shown]
	v_mov_b32_e32 v4, 8
	v_add_nc_u64_e32 v[8:9], v[8:9], v[12:13]
	v_mov_b64_e32 v[12:13], s[12:13]
	v_mov_b64_e32 v[14:15], s[14:15]
	s_delay_alu instid0(VALU_DEP_3) | instskip(NEXT) | instid1(VALU_DEP_4)
	v_readfirstlane_b32 s16, v8
	v_readfirstlane_b32 s17, v9
	s_clause 0x3
	global_store_b128 v0, v[2:5], s[16:17]
	global_store_b128 v0, v[12:15], s[16:17] offset:16
	global_store_b128 v0, v[12:15], s[16:17] offset:32
	;; [unrolled: 1-line block ×3, first 2 shown]
	s_wait_xcnt 0x0
	s_and_saveexec_b32 s3, s2
	s_cbranch_execz .LBB4_393
; %bb.386:
	v_dual_mov_b32 v8, 0 :: v_dual_mov_b32 v13, s11
	s_mov_b32 s12, exec_lo
	s_clause 0x1
	global_load_b64 v[14:15], v8, s[8:9] offset:32 scope:SCOPE_SYS
	global_load_b64 v[0:1], v8, s[8:9] offset:40
	s_wait_loadcnt 0x0
	v_dual_mov_b32 v12, s10 :: v_dual_bitop2_b32 v1, s11, v1 bitop3:0x40
	v_and_b32_e32 v0, s10, v0
	s_delay_alu instid0(VALU_DEP_1) | instskip(NEXT) | instid1(VALU_DEP_1)
	v_mul_u64_e32 v[0:1], 24, v[0:1]
	v_add_nc_u64_e32 v[4:5], v[6:7], v[0:1]
	global_store_b64 v[4:5], v[14:15], off
	global_wb scope:SCOPE_SYS
	s_wait_storecnt 0x0
	s_wait_xcnt 0x0
	global_atomic_cmpswap_b64 v[2:3], v8, v[12:15], s[8:9] offset:32 th:TH_ATOMIC_RETURN scope:SCOPE_SYS
	s_wait_loadcnt 0x0
	v_cmpx_ne_u64_e64 v[2:3], v[14:15]
	s_cbranch_execz .LBB4_389
; %bb.387:
	s_mov_b32 s13, 0
.LBB4_388:                              ; =>This Inner Loop Header: Depth=1
	v_dual_mov_b32 v0, s10 :: v_dual_mov_b32 v1, s11
	s_sleep 1
	global_store_b64 v[4:5], v[2:3], off
	global_wb scope:SCOPE_SYS
	s_wait_storecnt 0x0
	s_wait_xcnt 0x0
	global_atomic_cmpswap_b64 v[0:1], v8, v[0:3], s[8:9] offset:32 th:TH_ATOMIC_RETURN scope:SCOPE_SYS
	s_wait_loadcnt 0x0
	v_cmp_eq_u64_e32 vcc_lo, v[0:1], v[2:3]
	v_mov_b64_e32 v[2:3], v[0:1]
	s_or_b32 s13, vcc_lo, s13
	s_delay_alu instid0(SALU_CYCLE_1)
	s_and_not1_b32 exec_lo, exec_lo, s13
	s_cbranch_execnz .LBB4_388
.LBB4_389:
	s_or_b32 exec_lo, exec_lo, s12
	v_mov_b32_e32 v3, 0
	s_mov_b32 s13, exec_lo
	s_mov_b32 s12, exec_lo
	v_mbcnt_lo_u32_b32 v2, s13, 0
	global_load_b64 v[0:1], v3, s[8:9] offset:16
	s_wait_xcnt 0x0
	v_cmpx_eq_u32_e32 0, v2
	s_cbranch_execz .LBB4_391
; %bb.390:
	s_bcnt1_i32_b32 s13, s13
	s_delay_alu instid0(SALU_CYCLE_1)
	v_mov_b32_e32 v2, s13
	global_wb scope:SCOPE_SYS
	s_wait_loadcnt 0x0
	s_wait_storecnt 0x0
	global_atomic_add_u64 v[0:1], v[2:3], off offset:8 scope:SCOPE_SYS
.LBB4_391:
	s_wait_xcnt 0x0
	s_or_b32 exec_lo, exec_lo, s12
	s_wait_loadcnt 0x0
	global_load_b64 v[2:3], v[0:1], off offset:16
	s_wait_loadcnt 0x0
	v_cmp_eq_u64_e32 vcc_lo, 0, v[2:3]
	s_cbranch_vccnz .LBB4_393
; %bb.392:
	global_load_b32 v0, v[0:1], off offset:24
	s_wait_xcnt 0x0
	v_mov_b32_e32 v1, 0
	s_wait_loadcnt 0x0
	v_readfirstlane_b32 s12, v0
	global_wb scope:SCOPE_SYS
	s_wait_storecnt 0x0
	global_store_b64 v[2:3], v[0:1], off scope:SCOPE_SYS
	s_and_b32 m0, s12, 0xffffff
	s_sendmsg sendmsg(MSG_INTERRUPT)
.LBB4_393:
	s_wait_xcnt 0x0
	s_or_b32 exec_lo, exec_lo, s3
	s_branch .LBB4_397
.LBB4_394:                              ;   in Loop: Header=BB4_397 Depth=1
	s_wait_xcnt 0x0
	s_or_b32 exec_lo, exec_lo, s3
	s_delay_alu instid0(VALU_DEP_1)
	v_readfirstlane_b32 s3, v0
	s_cmp_eq_u32 s3, 0
	s_cbranch_scc1 .LBB4_396
; %bb.395:                              ;   in Loop: Header=BB4_397 Depth=1
	s_sleep 1
	s_cbranch_execnz .LBB4_397
	s_branch .LBB4_399
.LBB4_396:
	s_branch .LBB4_399
.LBB4_397:                              ; =>This Inner Loop Header: Depth=1
	v_mov_b32_e32 v0, 1
	s_and_saveexec_b32 s3, s2
	s_cbranch_execz .LBB4_394
; %bb.398:                              ;   in Loop: Header=BB4_397 Depth=1
	global_load_b32 v0, v[10:11], off offset:20 scope:SCOPE_SYS
	s_wait_loadcnt 0x0
	global_inv scope:SCOPE_SYS
	v_and_b32_e32 v0, 1, v0
	s_branch .LBB4_394
.LBB4_399:
	s_and_b32 exec_lo, exec_lo, s2
	s_cbranch_execz .LBB4_403
; %bb.400:
	v_mov_b32_e32 v6, 0
	s_clause 0x2
	global_load_b64 v[0:1], v6, s[8:9] offset:40
	global_load_b64 v[10:11], v6, s[8:9] offset:24 scope:SCOPE_SYS
	global_load_b64 v[2:3], v6, s[8:9]
	s_wait_loadcnt 0x2
	v_readfirstlane_b32 s12, v0
	v_readfirstlane_b32 s13, v1
	s_add_nc_u64 s[2:3], s[12:13], 1
	s_delay_alu instid0(SALU_CYCLE_1) | instskip(NEXT) | instid1(SALU_CYCLE_1)
	s_add_nc_u64 s[10:11], s[2:3], s[10:11]
	s_cmp_eq_u64 s[10:11], 0
	s_cselect_b32 s3, s3, s11
	s_cselect_b32 s2, s2, s10
	v_mov_b32_e32 v9, s3
	s_and_b64 s[10:11], s[2:3], s[12:13]
	v_mov_b32_e32 v8, s2
	s_mul_u64 s[10:11], s[10:11], 24
	s_wait_loadcnt 0x0
	v_add_nc_u64_e32 v[4:5], s[10:11], v[2:3]
	global_store_b64 v[4:5], v[10:11], off
	global_wb scope:SCOPE_SYS
	s_wait_storecnt 0x0
	s_wait_xcnt 0x0
	global_atomic_cmpswap_b64 v[2:3], v6, v[8:11], s[8:9] offset:24 th:TH_ATOMIC_RETURN scope:SCOPE_SYS
	s_wait_loadcnt 0x0
	v_cmp_ne_u64_e32 vcc_lo, v[2:3], v[10:11]
	s_and_b32 exec_lo, exec_lo, vcc_lo
	s_cbranch_execz .LBB4_403
; %bb.401:
	s_mov_b32 s10, 0
.LBB4_402:                              ; =>This Inner Loop Header: Depth=1
	v_dual_mov_b32 v0, s2 :: v_dual_mov_b32 v1, s3
	s_sleep 1
	global_store_b64 v[4:5], v[2:3], off
	global_wb scope:SCOPE_SYS
	s_wait_storecnt 0x0
	s_wait_xcnt 0x0
	global_atomic_cmpswap_b64 v[0:1], v6, v[0:3], s[8:9] offset:24 th:TH_ATOMIC_RETURN scope:SCOPE_SYS
	s_wait_loadcnt 0x0
	v_cmp_eq_u64_e32 vcc_lo, v[0:1], v[2:3]
	v_mov_b64_e32 v[2:3], v[0:1]
	s_or_b32 s10, vcc_lo, s10
	s_delay_alu instid0(SALU_CYCLE_1)
	s_and_not1_b32 exec_lo, exec_lo, s10
	s_cbranch_execnz .LBB4_402
.LBB4_403:
	s_or_b32 exec_lo, exec_lo, s23
	v_dual_mov_b32 v3, 0 :: v_dual_bitop2_b32 v0, -8, v28 bitop3:0x40
	v_dual_mov_b32 v31, v28 :: v_dual_bitop2_b32 v4, 7, v28 bitop3:0x40
	s_mov_b32 s2, exec_lo
	s_delay_alu instid0(VALU_DEP_2)
	v_ashrrev_i32_e32 v1, 31, v0
	s_wait_loadcnt 0x0
	s_wait_storecnt 0x0
	v_lshlrev_b32_e32 v2, 2, v4
	s_barrier_signal -1
	s_barrier_wait -1
	v_lshl_add_u64 v[0:1], v[0:1], 2, s[6:7]
	s_delay_alu instid0(VALU_DEP_1)
	v_add_nc_u64_e32 v[2:3], v[0:1], v[2:3]
	flat_store_b32 v[2:3], v28
	global_wb scope:SCOPE_DEV
	s_wait_storecnt_dscnt 0x0
	global_inv scope:SCOPE_DEV
	s_wait_xcnt 0x0
	v_cmpx_gt_u32_e32 4, v4
	s_cbranch_execz .LBB4_405
; %bb.404:
	flat_load_b32 v5, v[2:3] offset:16
	s_wait_loadcnt_dscnt 0x0
	v_add_nc_u32_e32 v31, v5, v28
.LBB4_405:
	s_or_b32 exec_lo, exec_lo, s2
	s_delay_alu instid0(SALU_CYCLE_1)
	s_mov_b32 s2, exec_lo
	global_wb scope:SCOPE_DEV
	s_wait_loadcnt 0x0
	s_wait_storecnt 0x0
	global_inv scope:SCOPE_DEV
	flat_store_b32 v[2:3], v31
	global_wb scope:SCOPE_DEV
	s_wait_storecnt 0x0
	s_wait_loadcnt_dscnt 0x0
	global_inv scope:SCOPE_DEV
	v_cmpx_gt_u32_e32 2, v4
	s_cbranch_execz .LBB4_407
; %bb.406:
	flat_load_b32 v5, v[2:3] offset:8
	s_wait_loadcnt_dscnt 0x0
	v_add_nc_u32_e32 v31, v5, v31
.LBB4_407:
	s_or_b32 exec_lo, exec_lo, s2
	v_cmp_eq_u32_e64 s2, 0, v4
	global_wb scope:SCOPE_DEV
	s_wait_loadcnt 0x0
	s_wait_storecnt 0x0
	global_inv scope:SCOPE_DEV
	flat_store_b32 v[2:3], v31
	global_wb scope:SCOPE_DEV
	s_wait_storecnt 0x0
	s_wait_loadcnt_dscnt 0x0
	global_inv scope:SCOPE_DEV
	s_and_saveexec_b32 s3, s2
	s_cbranch_execnz .LBB4_410
; %bb.408:
	s_or_b32 exec_lo, exec_lo, s3
	global_wb scope:SCOPE_DEV
	s_wait_loadcnt 0x0
	s_wait_storecnt 0x0
	global_inv scope:SCOPE_DEV
	s_and_saveexec_b32 s3, s2
	s_cbranch_execnz .LBB4_411
.LBB4_409:
	s_endpgm
.LBB4_410:
	flat_load_b32 v0, v[0:1] offset:4
	s_wait_loadcnt_dscnt 0x0
	v_add_nc_u32_e32 v31, v0, v31
	s_or_b32 exec_lo, exec_lo, s3
	global_wb scope:SCOPE_DEV
	s_wait_storecnt 0x0
	global_inv scope:SCOPE_DEV
	s_and_saveexec_b32 s3, s2
	s_cbranch_execz .LBB4_409
.LBB4_411:
	s_load_b64 s[4:5], s[4:5], 0x50
	v_mbcnt_lo_u32_b32 v29, -1, 0
	v_mov_b64_e32 v[2:3], 0
	s_delay_alu instid0(VALU_DEP_2) | instskip(NEXT) | instid1(VALU_DEP_1)
	v_readfirstlane_b32 s3, v29
	v_cmp_eq_u32_e64 s3, s3, v29
	s_and_saveexec_b32 s6, s3
	s_cbranch_execz .LBB4_417
; %bb.412:
	v_mov_b32_e32 v0, 0
	s_mov_b32 s7, exec_lo
	s_wait_kmcnt 0x0
	global_load_b64 v[4:5], v0, s[4:5] offset:24 scope:SCOPE_SYS
	s_wait_loadcnt 0x0
	global_inv scope:SCOPE_SYS
	s_clause 0x1
	global_load_b64 v[2:3], v0, s[4:5] offset:40
	global_load_b64 v[6:7], v0, s[4:5]
	s_wait_loadcnt 0x1
	v_and_b32_e32 v2, v2, v4
	v_and_b32_e32 v3, v3, v5
	s_delay_alu instid0(VALU_DEP_1) | instskip(SKIP_1) | instid1(VALU_DEP_1)
	v_mul_u64_e32 v[2:3], 24, v[2:3]
	s_wait_loadcnt 0x0
	v_add_nc_u64_e32 v[2:3], v[6:7], v[2:3]
	global_load_b64 v[2:3], v[2:3], off scope:SCOPE_SYS
	s_wait_xcnt 0x0
	s_wait_loadcnt 0x0
	global_atomic_cmpswap_b64 v[2:3], v0, v[2:5], s[4:5] offset:24 th:TH_ATOMIC_RETURN scope:SCOPE_SYS
	s_wait_loadcnt 0x0
	global_inv scope:SCOPE_SYS
	s_wait_xcnt 0x0
	v_cmpx_ne_u64_e64 v[2:3], v[4:5]
	s_cbranch_execz .LBB4_416
; %bb.413:
	s_mov_b32 s8, 0
.LBB4_414:                              ; =>This Inner Loop Header: Depth=1
	s_sleep 1
	s_clause 0x1
	global_load_b64 v[6:7], v0, s[4:5] offset:40
	global_load_b64 v[8:9], v0, s[4:5]
	v_mov_b64_e32 v[4:5], v[2:3]
	s_wait_loadcnt 0x1
	s_delay_alu instid0(VALU_DEP_1) | instskip(SKIP_1) | instid1(VALU_DEP_1)
	v_and_b32_e32 v1, v6, v4
	s_wait_loadcnt 0x0
	v_mad_nc_u64_u32 v[2:3], v1, 24, v[8:9]
	s_delay_alu instid0(VALU_DEP_3) | instskip(NEXT) | instid1(VALU_DEP_1)
	v_and_b32_e32 v1, v7, v5
	v_mad_u32 v3, v1, 24, v3
	global_load_b64 v[2:3], v[2:3], off scope:SCOPE_SYS
	s_wait_xcnt 0x0
	s_wait_loadcnt 0x0
	global_atomic_cmpswap_b64 v[2:3], v0, v[2:5], s[4:5] offset:24 th:TH_ATOMIC_RETURN scope:SCOPE_SYS
	s_wait_loadcnt 0x0
	global_inv scope:SCOPE_SYS
	v_cmp_eq_u64_e32 vcc_lo, v[2:3], v[4:5]
	s_or_b32 s8, vcc_lo, s8
	s_wait_xcnt 0x0
	s_and_not1_b32 exec_lo, exec_lo, s8
	s_cbranch_execnz .LBB4_414
; %bb.415:
	s_or_b32 exec_lo, exec_lo, s8
.LBB4_416:
	s_delay_alu instid0(SALU_CYCLE_1)
	s_or_b32 exec_lo, exec_lo, s7
.LBB4_417:
	s_delay_alu instid0(SALU_CYCLE_1)
	s_or_b32 exec_lo, exec_lo, s6
	v_readfirstlane_b32 s6, v2
	v_mov_b32_e32 v1, 0
	v_readfirstlane_b32 s7, v3
	s_mov_b32 s8, exec_lo
	s_wait_kmcnt 0x0
	s_clause 0x1
	global_load_b64 v[8:9], v1, s[4:5] offset:40
	global_load_b128 v[4:7], v1, s[4:5]
	s_wait_loadcnt 0x1
	v_and_b32_e32 v10, s6, v8
	v_and_b32_e32 v11, s7, v9
	s_delay_alu instid0(VALU_DEP_1) | instskip(SKIP_1) | instid1(VALU_DEP_1)
	v_mul_u64_e32 v[2:3], 24, v[10:11]
	s_wait_loadcnt 0x0
	v_add_nc_u64_e32 v[8:9], v[4:5], v[2:3]
	s_and_saveexec_b32 s9, s3
	s_cbranch_execz .LBB4_419
; %bb.418:
	v_mov_b64_e32 v[2:3], 0x100000002
	v_mov_b32_e32 v0, s8
	global_store_b128 v[8:9], v[0:3], off offset:8
.LBB4_419:
	s_wait_xcnt 0x0
	s_or_b32 exec_lo, exec_lo, s9
	v_lshlrev_b64_e32 v[2:3], 12, v[10:11]
	s_mov_b32 s8, 0
	v_dual_lshlrev_b32 v0, 6, v29 :: v_dual_mov_b32 v10, 33
	s_mov_b32 s10, s8
	s_mov_b32 s11, s8
	;; [unrolled: 1-line block ×3, first 2 shown]
	s_delay_alu instid0(VALU_DEP_2)
	v_add_nc_u64_e32 v[6:7], v[6:7], v[2:3]
	v_mov_b64_e32 v[16:17], s[10:11]
	v_mov_b64_e32 v[14:15], s[8:9]
	v_dual_mov_b32 v11, v1 :: v_dual_mov_b32 v12, v1
	v_mov_b32_e32 v13, v1
	v_readfirstlane_b32 s12, v6
	v_readfirstlane_b32 s13, v7
	s_clause 0x3
	global_store_b128 v0, v[10:13], s[12:13]
	global_store_b128 v0, v[14:17], s[12:13] offset:16
	global_store_b128 v0, v[14:17], s[12:13] offset:32
	;; [unrolled: 1-line block ×3, first 2 shown]
	s_wait_xcnt 0x0
	s_and_saveexec_b32 s8, s3
	s_cbranch_execz .LBB4_427
; %bb.420:
	v_dual_mov_b32 v12, 0 :: v_dual_mov_b32 v15, s7
	s_mov_b32 s9, exec_lo
	s_clause 0x1
	global_load_b64 v[16:17], v12, s[4:5] offset:32 scope:SCOPE_SYS
	global_load_b64 v[2:3], v12, s[4:5] offset:40
	s_wait_loadcnt 0x0
	v_dual_mov_b32 v14, s6 :: v_dual_bitop2_b32 v3, s7, v3 bitop3:0x40
	v_and_b32_e32 v2, s6, v2
	s_delay_alu instid0(VALU_DEP_1) | instskip(NEXT) | instid1(VALU_DEP_1)
	v_mul_u64_e32 v[2:3], 24, v[2:3]
	v_add_nc_u64_e32 v[10:11], v[4:5], v[2:3]
	global_store_b64 v[10:11], v[16:17], off
	global_wb scope:SCOPE_SYS
	s_wait_storecnt 0x0
	s_wait_xcnt 0x0
	global_atomic_cmpswap_b64 v[4:5], v12, v[14:17], s[4:5] offset:32 th:TH_ATOMIC_RETURN scope:SCOPE_SYS
	s_wait_loadcnt 0x0
	v_cmpx_ne_u64_e64 v[4:5], v[16:17]
	s_cbranch_execz .LBB4_423
; %bb.421:
	s_mov_b32 s10, 0
.LBB4_422:                              ; =>This Inner Loop Header: Depth=1
	v_dual_mov_b32 v2, s6 :: v_dual_mov_b32 v3, s7
	s_sleep 1
	global_store_b64 v[10:11], v[4:5], off
	global_wb scope:SCOPE_SYS
	s_wait_storecnt 0x0
	s_wait_xcnt 0x0
	global_atomic_cmpswap_b64 v[2:3], v12, v[2:5], s[4:5] offset:32 th:TH_ATOMIC_RETURN scope:SCOPE_SYS
	s_wait_loadcnt 0x0
	v_cmp_eq_u64_e32 vcc_lo, v[2:3], v[4:5]
	v_mov_b64_e32 v[4:5], v[2:3]
	s_or_b32 s10, vcc_lo, s10
	s_delay_alu instid0(SALU_CYCLE_1)
	s_and_not1_b32 exec_lo, exec_lo, s10
	s_cbranch_execnz .LBB4_422
.LBB4_423:
	s_or_b32 exec_lo, exec_lo, s9
	v_mov_b32_e32 v5, 0
	s_mov_b32 s10, exec_lo
	s_mov_b32 s9, exec_lo
	v_mbcnt_lo_u32_b32 v4, s10, 0
	global_load_b64 v[2:3], v5, s[4:5] offset:16
	s_wait_xcnt 0x0
	v_cmpx_eq_u32_e32 0, v4
	s_cbranch_execz .LBB4_425
; %bb.424:
	s_bcnt1_i32_b32 s10, s10
	s_delay_alu instid0(SALU_CYCLE_1)
	v_mov_b32_e32 v4, s10
	global_wb scope:SCOPE_SYS
	s_wait_loadcnt 0x0
	s_wait_storecnt 0x0
	global_atomic_add_u64 v[2:3], v[4:5], off offset:8 scope:SCOPE_SYS
.LBB4_425:
	s_wait_xcnt 0x0
	s_or_b32 exec_lo, exec_lo, s9
	s_wait_loadcnt 0x0
	global_load_b64 v[4:5], v[2:3], off offset:16
	s_wait_loadcnt 0x0
	v_cmp_eq_u64_e32 vcc_lo, 0, v[4:5]
	s_cbranch_vccnz .LBB4_427
; %bb.426:
	global_load_b32 v2, v[2:3], off offset:24
	s_wait_xcnt 0x0
	v_mov_b32_e32 v3, 0
	s_wait_loadcnt 0x0
	v_readfirstlane_b32 s9, v2
	global_wb scope:SCOPE_SYS
	s_wait_storecnt 0x0
	global_store_b64 v[4:5], v[2:3], off scope:SCOPE_SYS
	s_and_b32 m0, s9, 0xffffff
	s_sendmsg sendmsg(MSG_INTERRUPT)
.LBB4_427:
	s_wait_xcnt 0x0
	s_or_b32 exec_lo, exec_lo, s8
	v_add_nc_u64_e32 v[2:3], v[6:7], v[0:1]
	s_branch .LBB4_431
.LBB4_428:                              ;   in Loop: Header=BB4_431 Depth=1
	s_wait_xcnt 0x0
	s_or_b32 exec_lo, exec_lo, s8
	s_delay_alu instid0(VALU_DEP_1)
	v_readfirstlane_b32 s8, v1
	s_cmp_eq_u32 s8, 0
	s_cbranch_scc1 .LBB4_430
; %bb.429:                              ;   in Loop: Header=BB4_431 Depth=1
	s_sleep 1
	s_cbranch_execnz .LBB4_431
	s_branch .LBB4_433
.LBB4_430:
	s_branch .LBB4_433
.LBB4_431:                              ; =>This Inner Loop Header: Depth=1
	v_mov_b32_e32 v1, 1
	s_and_saveexec_b32 s8, s3
	s_cbranch_execz .LBB4_428
; %bb.432:                              ;   in Loop: Header=BB4_431 Depth=1
	global_load_b32 v1, v[8:9], off offset:20 scope:SCOPE_SYS
	s_wait_loadcnt 0x0
	global_inv scope:SCOPE_SYS
	v_and_b32_e32 v1, 1, v1
	s_branch .LBB4_428
.LBB4_433:
	global_load_b64 v[2:3], v[2:3], off
	s_wait_xcnt 0x0
	s_and_saveexec_b32 s8, s3
	s_cbranch_execz .LBB4_437
; %bb.434:
	v_mov_b32_e32 v1, 0
	s_clause 0x2
	global_load_b64 v[4:5], v1, s[4:5] offset:40
	global_load_b64 v[12:13], v1, s[4:5] offset:24 scope:SCOPE_SYS
	global_load_b64 v[6:7], v1, s[4:5]
	s_wait_loadcnt 0x2
	v_readfirstlane_b32 s10, v4
	v_readfirstlane_b32 s11, v5
	s_add_nc_u64 s[12:13], s[10:11], 1
	s_delay_alu instid0(SALU_CYCLE_1) | instskip(NEXT) | instid1(SALU_CYCLE_1)
	s_add_nc_u64 s[6:7], s[12:13], s[6:7]
	s_cmp_eq_u64 s[6:7], 0
	s_cselect_b32 s7, s13, s7
	s_cselect_b32 s6, s12, s6
	v_mov_b32_e32 v11, s7
	s_and_b64 s[10:11], s[6:7], s[10:11]
	v_mov_b32_e32 v10, s6
	s_mul_u64 s[10:11], s[10:11], 24
	s_wait_loadcnt 0x0
	v_add_nc_u64_e32 v[8:9], s[10:11], v[6:7]
	global_store_b64 v[8:9], v[12:13], off
	global_wb scope:SCOPE_SYS
	s_wait_storecnt 0x0
	s_wait_xcnt 0x0
	global_atomic_cmpswap_b64 v[6:7], v1, v[10:13], s[4:5] offset:24 th:TH_ATOMIC_RETURN scope:SCOPE_SYS
	s_wait_loadcnt 0x0
	v_cmp_ne_u64_e32 vcc_lo, v[6:7], v[12:13]
	s_and_b32 exec_lo, exec_lo, vcc_lo
	s_cbranch_execz .LBB4_437
; %bb.435:
	s_mov_b32 s3, 0
.LBB4_436:                              ; =>This Inner Loop Header: Depth=1
	v_dual_mov_b32 v4, s6 :: v_dual_mov_b32 v5, s7
	s_sleep 1
	global_store_b64 v[8:9], v[6:7], off
	global_wb scope:SCOPE_SYS
	s_wait_storecnt 0x0
	s_wait_xcnt 0x0
	global_atomic_cmpswap_b64 v[4:5], v1, v[4:7], s[4:5] offset:24 th:TH_ATOMIC_RETURN scope:SCOPE_SYS
	s_wait_loadcnt 0x0
	v_cmp_eq_u64_e32 vcc_lo, v[4:5], v[6:7]
	v_mov_b64_e32 v[6:7], v[4:5]
	s_or_b32 s3, vcc_lo, s3
	s_delay_alu instid0(SALU_CYCLE_1)
	s_and_not1_b32 exec_lo, exec_lo, s3
	s_cbranch_execnz .LBB4_436
.LBB4_437:
	s_or_b32 exec_lo, exec_lo, s8
	s_get_pc_i64 s[6:7]
	s_add_nc_u64 s[6:7], s[6:7], .str.9@rel64+4
	s_mov_b64 s[8:9], 0
	s_cmp_lg_u64 s[6:7], 0
	s_cselect_b32 s3, -1, 0
	s_cmp_eq_u64 s[6:7], 0
	s_cbranch_scc1 .LBB4_441
; %bb.438:
	s_get_pc_i64 s[8:9]
	s_add_nc_u64 s[8:9], s[8:9], .str.9@rel64+3
.LBB4_439:                              ; =>This Inner Loop Header: Depth=1
	s_load_u8 s10, s[8:9], 0x1
	s_wait_xcnt 0x0
	s_add_nc_u64 s[8:9], s[8:9], 1
	s_wait_kmcnt 0x0
	s_cmp_lg_u32 s10, 0
	s_cbranch_scc1 .LBB4_439
; %bb.440:
	s_get_pc_i64 s[10:11]
	s_add_nc_u64 s[10:11], s[10:11], .str.9@rel64+4
	s_delay_alu instid0(SALU_CYCLE_1) | instskip(NEXT) | instid1(SALU_CYCLE_1)
	s_sub_nc_u64 s[8:9], s[8:9], s[10:11]
	s_add_nc_u64 s[8:9], s[8:9], 1
.LBB4_441:
	s_and_b32 vcc_lo, exec_lo, s3
	s_cbranch_vccz .LBB4_520
; %bb.442:
	v_mov_b64_e32 v[10:11], 0x100000002
	s_wait_loadcnt 0x0
	v_dual_mov_b32 v9, 0 :: v_dual_bitop2_b32 v30, 2, v2 bitop3:0x40
	v_dual_mov_b32 v5, v3 :: v_dual_bitop2_b32 v4, -3, v2 bitop3:0x40
	s_branch .LBB4_444
.LBB4_443:                              ;   in Loop: Header=BB4_444 Depth=1
	s_or_b32 exec_lo, exec_lo, s14
	s_sub_nc_u64 s[8:9], s[8:9], s[10:11]
	s_add_nc_u64 s[6:7], s[6:7], s[10:11]
	s_cmp_lg_u64 s[8:9], 0
	s_cbranch_scc0 .LBB4_519
.LBB4_444:                              ; =>This Loop Header: Depth=1
                                        ;     Child Loop BB4_447 Depth 2
                                        ;     Child Loop BB4_454 Depth 2
	;; [unrolled: 1-line block ×11, first 2 shown]
	v_min_u64 v[6:7], s[8:9], 56
	v_cmp_gt_u64_e64 s3, s[8:9], 7
	s_and_b32 vcc_lo, exec_lo, s3
	v_readfirstlane_b32 s10, v6
	v_readfirstlane_b32 s11, v7
	s_cbranch_vccnz .LBB4_449
; %bb.445:                              ;   in Loop: Header=BB4_444 Depth=1
	v_mov_b64_e32 v[6:7], 0
	s_cmp_eq_u64 s[8:9], 0
	s_cbranch_scc1 .LBB4_448
; %bb.446:                              ;   in Loop: Header=BB4_444 Depth=1
	s_mov_b64 s[12:13], 0
	s_mov_b64 s[14:15], 0
.LBB4_447:                              ;   Parent Loop BB4_444 Depth=1
                                        ; =>  This Inner Loop Header: Depth=2
	s_wait_xcnt 0x0
	s_add_nc_u64 s[16:17], s[6:7], s[14:15]
	s_add_nc_u64 s[14:15], s[14:15], 1
	global_load_u8 v1, v9, s[16:17]
	s_cmp_lg_u32 s10, s14
	s_wait_loadcnt 0x0
	v_and_b32_e32 v8, 0xffff, v1
	s_delay_alu instid0(VALU_DEP_1) | instskip(SKIP_1) | instid1(VALU_DEP_1)
	v_lshlrev_b64_e32 v[12:13], s12, v[8:9]
	s_add_nc_u64 s[12:13], s[12:13], 8
	v_or_b32_e32 v6, v12, v6
	s_delay_alu instid0(VALU_DEP_2)
	v_or_b32_e32 v7, v13, v7
	s_cbranch_scc1 .LBB4_447
.LBB4_448:                              ;   in Loop: Header=BB4_444 Depth=1
	s_mov_b64 s[14:15], s[6:7]
	s_mov_b32 s3, 0
	s_cbranch_execz .LBB4_450
	s_branch .LBB4_451
.LBB4_449:                              ;   in Loop: Header=BB4_444 Depth=1
	s_add_nc_u64 s[14:15], s[6:7], 8
	s_mov_b32 s3, 0
.LBB4_450:                              ;   in Loop: Header=BB4_444 Depth=1
	global_load_b64 v[6:7], v9, s[6:7]
	s_add_co_i32 s3, s10, -8
.LBB4_451:                              ;   in Loop: Header=BB4_444 Depth=1
	s_delay_alu instid0(SALU_CYCLE_1)
	s_cmp_gt_u32 s3, 7
	s_cbranch_scc1 .LBB4_456
; %bb.452:                              ;   in Loop: Header=BB4_444 Depth=1
	v_mov_b64_e32 v[12:13], 0
	s_cmp_eq_u32 s3, 0
	s_cbranch_scc1 .LBB4_455
; %bb.453:                              ;   in Loop: Header=BB4_444 Depth=1
	s_mov_b64 s[12:13], 0
	s_wait_xcnt 0x0
	s_mov_b64 s[16:17], 0
.LBB4_454:                              ;   Parent Loop BB4_444 Depth=1
                                        ; =>  This Inner Loop Header: Depth=2
	s_wait_xcnt 0x0
	s_add_nc_u64 s[18:19], s[14:15], s[16:17]
	s_add_nc_u64 s[16:17], s[16:17], 1
	global_load_u8 v1, v9, s[18:19]
	s_cmp_lg_u32 s3, s16
	s_wait_loadcnt 0x0
	v_and_b32_e32 v8, 0xffff, v1
	s_delay_alu instid0(VALU_DEP_1) | instskip(SKIP_1) | instid1(VALU_DEP_1)
	v_lshlrev_b64_e32 v[14:15], s12, v[8:9]
	s_add_nc_u64 s[12:13], s[12:13], 8
	v_or_b32_e32 v12, v14, v12
	s_delay_alu instid0(VALU_DEP_2)
	v_or_b32_e32 v13, v15, v13
	s_cbranch_scc1 .LBB4_454
.LBB4_455:                              ;   in Loop: Header=BB4_444 Depth=1
	s_wait_xcnt 0x0
	s_mov_b64 s[12:13], s[14:15]
	s_mov_b32 s18, 0
	s_cbranch_execz .LBB4_457
	s_branch .LBB4_458
.LBB4_456:                              ;   in Loop: Header=BB4_444 Depth=1
	s_add_nc_u64 s[12:13], s[14:15], 8
	s_wait_xcnt 0x0
                                        ; implicit-def: $vgpr12_vgpr13
	s_mov_b32 s18, 0
.LBB4_457:                              ;   in Loop: Header=BB4_444 Depth=1
	global_load_b64 v[12:13], v9, s[14:15]
	s_add_co_i32 s18, s3, -8
.LBB4_458:                              ;   in Loop: Header=BB4_444 Depth=1
	s_delay_alu instid0(SALU_CYCLE_1)
	s_cmp_gt_u32 s18, 7
	s_cbranch_scc1 .LBB4_463
; %bb.459:                              ;   in Loop: Header=BB4_444 Depth=1
	v_mov_b64_e32 v[14:15], 0
	s_cmp_eq_u32 s18, 0
	s_cbranch_scc1 .LBB4_462
; %bb.460:                              ;   in Loop: Header=BB4_444 Depth=1
	s_wait_xcnt 0x0
	s_mov_b64 s[14:15], 0
	s_mov_b64 s[16:17], 0
.LBB4_461:                              ;   Parent Loop BB4_444 Depth=1
                                        ; =>  This Inner Loop Header: Depth=2
	s_wait_xcnt 0x0
	s_add_nc_u64 s[20:21], s[12:13], s[16:17]
	s_add_nc_u64 s[16:17], s[16:17], 1
	global_load_u8 v1, v9, s[20:21]
	s_cmp_lg_u32 s18, s16
	s_wait_loadcnt 0x0
	v_and_b32_e32 v8, 0xffff, v1
	s_delay_alu instid0(VALU_DEP_1) | instskip(SKIP_1) | instid1(VALU_DEP_1)
	v_lshlrev_b64_e32 v[16:17], s14, v[8:9]
	s_add_nc_u64 s[14:15], s[14:15], 8
	v_or_b32_e32 v14, v16, v14
	s_delay_alu instid0(VALU_DEP_2)
	v_or_b32_e32 v15, v17, v15
	s_cbranch_scc1 .LBB4_461
.LBB4_462:                              ;   in Loop: Header=BB4_444 Depth=1
	s_wait_xcnt 0x0
	s_mov_b64 s[14:15], s[12:13]
	s_mov_b32 s3, 0
	s_cbranch_execz .LBB4_464
	s_branch .LBB4_465
.LBB4_463:                              ;   in Loop: Header=BB4_444 Depth=1
	s_wait_xcnt 0x0
	s_add_nc_u64 s[14:15], s[12:13], 8
	s_mov_b32 s3, 0
.LBB4_464:                              ;   in Loop: Header=BB4_444 Depth=1
	global_load_b64 v[14:15], v9, s[12:13]
	s_add_co_i32 s3, s18, -8
.LBB4_465:                              ;   in Loop: Header=BB4_444 Depth=1
	s_delay_alu instid0(SALU_CYCLE_1)
	s_cmp_gt_u32 s3, 7
	s_cbranch_scc1 .LBB4_470
; %bb.466:                              ;   in Loop: Header=BB4_444 Depth=1
	v_mov_b64_e32 v[16:17], 0
	s_cmp_eq_u32 s3, 0
	s_cbranch_scc1 .LBB4_469
; %bb.467:                              ;   in Loop: Header=BB4_444 Depth=1
	s_wait_xcnt 0x0
	s_mov_b64 s[12:13], 0
	s_mov_b64 s[16:17], 0
.LBB4_468:                              ;   Parent Loop BB4_444 Depth=1
                                        ; =>  This Inner Loop Header: Depth=2
	s_wait_xcnt 0x0
	s_add_nc_u64 s[18:19], s[14:15], s[16:17]
	s_add_nc_u64 s[16:17], s[16:17], 1
	global_load_u8 v1, v9, s[18:19]
	s_cmp_lg_u32 s3, s16
	s_wait_loadcnt 0x0
	v_and_b32_e32 v8, 0xffff, v1
	s_delay_alu instid0(VALU_DEP_1) | instskip(SKIP_1) | instid1(VALU_DEP_1)
	v_lshlrev_b64_e32 v[18:19], s12, v[8:9]
	s_add_nc_u64 s[12:13], s[12:13], 8
	v_or_b32_e32 v16, v18, v16
	s_delay_alu instid0(VALU_DEP_2)
	v_or_b32_e32 v17, v19, v17
	s_cbranch_scc1 .LBB4_468
.LBB4_469:                              ;   in Loop: Header=BB4_444 Depth=1
	s_wait_xcnt 0x0
	s_mov_b64 s[12:13], s[14:15]
	s_mov_b32 s18, 0
	s_cbranch_execz .LBB4_471
	s_branch .LBB4_472
.LBB4_470:                              ;   in Loop: Header=BB4_444 Depth=1
	s_wait_xcnt 0x0
	s_add_nc_u64 s[12:13], s[14:15], 8
                                        ; implicit-def: $vgpr16_vgpr17
	s_mov_b32 s18, 0
.LBB4_471:                              ;   in Loop: Header=BB4_444 Depth=1
	global_load_b64 v[16:17], v9, s[14:15]
	s_add_co_i32 s18, s3, -8
.LBB4_472:                              ;   in Loop: Header=BB4_444 Depth=1
	s_delay_alu instid0(SALU_CYCLE_1)
	s_cmp_gt_u32 s18, 7
	s_cbranch_scc1 .LBB4_477
; %bb.473:                              ;   in Loop: Header=BB4_444 Depth=1
	v_mov_b64_e32 v[18:19], 0
	s_cmp_eq_u32 s18, 0
	s_cbranch_scc1 .LBB4_476
; %bb.474:                              ;   in Loop: Header=BB4_444 Depth=1
	s_wait_xcnt 0x0
	s_mov_b64 s[14:15], 0
	s_mov_b64 s[16:17], 0
.LBB4_475:                              ;   Parent Loop BB4_444 Depth=1
                                        ; =>  This Inner Loop Header: Depth=2
	s_wait_xcnt 0x0
	s_add_nc_u64 s[20:21], s[12:13], s[16:17]
	s_add_nc_u64 s[16:17], s[16:17], 1
	global_load_u8 v1, v9, s[20:21]
	s_cmp_lg_u32 s18, s16
	s_wait_loadcnt 0x0
	v_and_b32_e32 v8, 0xffff, v1
	s_delay_alu instid0(VALU_DEP_1) | instskip(SKIP_1) | instid1(VALU_DEP_1)
	v_lshlrev_b64_e32 v[20:21], s14, v[8:9]
	s_add_nc_u64 s[14:15], s[14:15], 8
	v_or_b32_e32 v18, v20, v18
	s_delay_alu instid0(VALU_DEP_2)
	v_or_b32_e32 v19, v21, v19
	s_cbranch_scc1 .LBB4_475
.LBB4_476:                              ;   in Loop: Header=BB4_444 Depth=1
	s_wait_xcnt 0x0
	s_mov_b64 s[14:15], s[12:13]
	s_mov_b32 s3, 0
	s_cbranch_execz .LBB4_478
	s_branch .LBB4_479
.LBB4_477:                              ;   in Loop: Header=BB4_444 Depth=1
	s_wait_xcnt 0x0
	s_add_nc_u64 s[14:15], s[12:13], 8
	s_mov_b32 s3, 0
.LBB4_478:                              ;   in Loop: Header=BB4_444 Depth=1
	global_load_b64 v[18:19], v9, s[12:13]
	s_add_co_i32 s3, s18, -8
.LBB4_479:                              ;   in Loop: Header=BB4_444 Depth=1
	s_delay_alu instid0(SALU_CYCLE_1)
	s_cmp_gt_u32 s3, 7
	s_cbranch_scc1 .LBB4_484
; %bb.480:                              ;   in Loop: Header=BB4_444 Depth=1
	v_mov_b64_e32 v[20:21], 0
	s_cmp_eq_u32 s3, 0
	s_cbranch_scc1 .LBB4_483
; %bb.481:                              ;   in Loop: Header=BB4_444 Depth=1
	s_wait_xcnt 0x0
	s_mov_b64 s[12:13], 0
	s_mov_b64 s[16:17], 0
.LBB4_482:                              ;   Parent Loop BB4_444 Depth=1
                                        ; =>  This Inner Loop Header: Depth=2
	s_wait_xcnt 0x0
	s_add_nc_u64 s[18:19], s[14:15], s[16:17]
	s_add_nc_u64 s[16:17], s[16:17], 1
	global_load_u8 v1, v9, s[18:19]
	s_cmp_lg_u32 s3, s16
	s_wait_loadcnt 0x0
	v_and_b32_e32 v8, 0xffff, v1
	s_delay_alu instid0(VALU_DEP_1) | instskip(SKIP_1) | instid1(VALU_DEP_1)
	v_lshlrev_b64_e32 v[22:23], s12, v[8:9]
	s_add_nc_u64 s[12:13], s[12:13], 8
	v_or_b32_e32 v20, v22, v20
	s_delay_alu instid0(VALU_DEP_2)
	v_or_b32_e32 v21, v23, v21
	s_cbranch_scc1 .LBB4_482
.LBB4_483:                              ;   in Loop: Header=BB4_444 Depth=1
	s_wait_xcnt 0x0
	s_mov_b64 s[12:13], s[14:15]
	s_mov_b32 s18, 0
	s_cbranch_execz .LBB4_485
	s_branch .LBB4_486
.LBB4_484:                              ;   in Loop: Header=BB4_444 Depth=1
	s_wait_xcnt 0x0
	s_add_nc_u64 s[12:13], s[14:15], 8
                                        ; implicit-def: $vgpr20_vgpr21
	s_mov_b32 s18, 0
.LBB4_485:                              ;   in Loop: Header=BB4_444 Depth=1
	global_load_b64 v[20:21], v9, s[14:15]
	s_add_co_i32 s18, s3, -8
.LBB4_486:                              ;   in Loop: Header=BB4_444 Depth=1
	s_delay_alu instid0(SALU_CYCLE_1)
	s_cmp_gt_u32 s18, 7
	s_cbranch_scc1 .LBB4_491
; %bb.487:                              ;   in Loop: Header=BB4_444 Depth=1
	v_mov_b64_e32 v[22:23], 0
	s_cmp_eq_u32 s18, 0
	s_cbranch_scc1 .LBB4_490
; %bb.488:                              ;   in Loop: Header=BB4_444 Depth=1
	s_wait_xcnt 0x0
	s_mov_b64 s[14:15], 0
	s_mov_b64 s[16:17], s[12:13]
.LBB4_489:                              ;   Parent Loop BB4_444 Depth=1
                                        ; =>  This Inner Loop Header: Depth=2
	global_load_u8 v1, v9, s[16:17]
	s_add_co_i32 s18, s18, -1
	s_wait_xcnt 0x0
	s_add_nc_u64 s[16:17], s[16:17], 1
	s_cmp_lg_u32 s18, 0
	s_wait_loadcnt 0x0
	v_and_b32_e32 v8, 0xffff, v1
	s_delay_alu instid0(VALU_DEP_1) | instskip(SKIP_1) | instid1(VALU_DEP_1)
	v_lshlrev_b64_e32 v[24:25], s14, v[8:9]
	s_add_nc_u64 s[14:15], s[14:15], 8
	v_or_b32_e32 v22, v24, v22
	s_delay_alu instid0(VALU_DEP_2)
	v_or_b32_e32 v23, v25, v23
	s_cbranch_scc1 .LBB4_489
.LBB4_490:                              ;   in Loop: Header=BB4_444 Depth=1
	s_cbranch_execz .LBB4_492
	s_branch .LBB4_493
.LBB4_491:                              ;   in Loop: Header=BB4_444 Depth=1
.LBB4_492:                              ;   in Loop: Header=BB4_444 Depth=1
	global_load_b64 v[22:23], v9, s[12:13]
.LBB4_493:                              ;   in Loop: Header=BB4_444 Depth=1
	v_readfirstlane_b32 s3, v29
	v_mov_b64_e32 v[32:33], 0
	s_delay_alu instid0(VALU_DEP_2)
	v_cmp_eq_u32_e64 s3, s3, v29
	s_wait_xcnt 0x0
	s_and_saveexec_b32 s12, s3
	s_cbranch_execz .LBB4_499
; %bb.494:                              ;   in Loop: Header=BB4_444 Depth=1
	global_load_b64 v[26:27], v9, s[4:5] offset:24 scope:SCOPE_SYS
	s_wait_loadcnt 0x0
	global_inv scope:SCOPE_SYS
	s_clause 0x1
	global_load_b64 v[24:25], v9, s[4:5] offset:40
	global_load_b64 v[32:33], v9, s[4:5]
	s_mov_b32 s13, exec_lo
	s_wait_loadcnt 0x1
	v_and_b32_e32 v24, v24, v26
	v_and_b32_e32 v25, v25, v27
	s_delay_alu instid0(VALU_DEP_1) | instskip(SKIP_1) | instid1(VALU_DEP_1)
	v_mul_u64_e32 v[24:25], 24, v[24:25]
	s_wait_loadcnt 0x0
	v_add_nc_u64_e32 v[24:25], v[32:33], v[24:25]
	global_load_b64 v[24:25], v[24:25], off scope:SCOPE_SYS
	s_wait_xcnt 0x0
	s_wait_loadcnt 0x0
	global_atomic_cmpswap_b64 v[32:33], v9, v[24:27], s[4:5] offset:24 th:TH_ATOMIC_RETURN scope:SCOPE_SYS
	s_wait_loadcnt 0x0
	global_inv scope:SCOPE_SYS
	s_wait_xcnt 0x0
	v_cmpx_ne_u64_e64 v[32:33], v[26:27]
	s_cbranch_execz .LBB4_498
; %bb.495:                              ;   in Loop: Header=BB4_444 Depth=1
	s_mov_b32 s14, 0
.LBB4_496:                              ;   Parent Loop BB4_444 Depth=1
                                        ; =>  This Inner Loop Header: Depth=2
	s_sleep 1
	s_clause 0x1
	global_load_b64 v[24:25], v9, s[4:5] offset:40
	global_load_b64 v[34:35], v9, s[4:5]
	v_mov_b64_e32 v[26:27], v[32:33]
	s_wait_loadcnt 0x1
	s_delay_alu instid0(VALU_DEP_1) | instskip(SKIP_1) | instid1(VALU_DEP_1)
	v_and_b32_e32 v1, v24, v26
	s_wait_loadcnt 0x0
	v_mad_nc_u64_u32 v[32:33], v1, 24, v[34:35]
	s_delay_alu instid0(VALU_DEP_3) | instskip(NEXT) | instid1(VALU_DEP_1)
	v_and_b32_e32 v1, v25, v27
	v_mad_u32 v33, v1, 24, v33
	global_load_b64 v[24:25], v[32:33], off scope:SCOPE_SYS
	s_wait_xcnt 0x0
	s_wait_loadcnt 0x0
	global_atomic_cmpswap_b64 v[32:33], v9, v[24:27], s[4:5] offset:24 th:TH_ATOMIC_RETURN scope:SCOPE_SYS
	s_wait_loadcnt 0x0
	global_inv scope:SCOPE_SYS
	v_cmp_eq_u64_e32 vcc_lo, v[32:33], v[26:27]
	s_or_b32 s14, vcc_lo, s14
	s_wait_xcnt 0x0
	s_and_not1_b32 exec_lo, exec_lo, s14
	s_cbranch_execnz .LBB4_496
; %bb.497:                              ;   in Loop: Header=BB4_444 Depth=1
	s_or_b32 exec_lo, exec_lo, s14
.LBB4_498:                              ;   in Loop: Header=BB4_444 Depth=1
	s_delay_alu instid0(SALU_CYCLE_1)
	s_or_b32 exec_lo, exec_lo, s13
.LBB4_499:                              ;   in Loop: Header=BB4_444 Depth=1
	s_delay_alu instid0(SALU_CYCLE_1)
	s_or_b32 exec_lo, exec_lo, s12
	s_clause 0x1
	global_load_b64 v[34:35], v9, s[4:5] offset:40
	global_load_b128 v[24:27], v9, s[4:5]
	v_readfirstlane_b32 s12, v32
	v_readfirstlane_b32 s13, v33
	s_mov_b32 s14, exec_lo
	s_wait_loadcnt 0x1
	v_and_b32_e32 v34, s12, v34
	v_and_b32_e32 v35, s13, v35
	s_delay_alu instid0(VALU_DEP_1) | instskip(SKIP_1) | instid1(VALU_DEP_1)
	v_mul_u64_e32 v[32:33], 24, v[34:35]
	s_wait_loadcnt 0x0
	v_add_nc_u64_e32 v[32:33], v[24:25], v[32:33]
	s_wait_xcnt 0x0
	s_and_saveexec_b32 s15, s3
	s_cbranch_execz .LBB4_501
; %bb.500:                              ;   in Loop: Header=BB4_444 Depth=1
	v_mov_b32_e32 v8, s14
	global_store_b128 v[32:33], v[8:11], off offset:8
.LBB4_501:                              ;   in Loop: Header=BB4_444 Depth=1
	s_wait_xcnt 0x0
	s_or_b32 exec_lo, exec_lo, s15
	v_cmp_lt_u64_e64 vcc_lo, s[8:9], 57
	v_lshlrev_b64_e32 v[34:35], 12, v[34:35]
	v_and_b32_e32 v4, 0xffffff1f, v4
	s_lshl_b32 s14, s10, 2
	s_delay_alu instid0(SALU_CYCLE_1) | instskip(SKIP_1) | instid1(VALU_DEP_3)
	s_add_co_i32 s14, s14, 28
	v_cndmask_b32_e32 v1, 0, v30, vcc_lo
	v_add_nc_u64_e32 v[26:27], v[26:27], v[34:35]
	s_delay_alu instid0(VALU_DEP_2) | instskip(NEXT) | instid1(VALU_DEP_2)
	v_or_b32_e32 v1, v4, v1
	v_readfirstlane_b32 s15, v27
	s_delay_alu instid0(VALU_DEP_2) | instskip(NEXT) | instid1(VALU_DEP_4)
	v_and_or_b32 v4, 0x1e0, s14, v1
	v_readfirstlane_b32 s14, v26
	s_clause 0x3
	global_store_b128 v0, v[4:7], s[14:15]
	global_store_b128 v0, v[12:15], s[14:15] offset:16
	global_store_b128 v0, v[16:19], s[14:15] offset:32
	;; [unrolled: 1-line block ×3, first 2 shown]
	s_wait_xcnt 0x0
	s_and_saveexec_b32 s14, s3
	s_cbranch_execz .LBB4_509
; %bb.502:                              ;   in Loop: Header=BB4_444 Depth=1
	s_clause 0x1
	global_load_b64 v[16:17], v9, s[4:5] offset:32 scope:SCOPE_SYS
	global_load_b64 v[4:5], v9, s[4:5] offset:40
	s_mov_b32 s15, exec_lo
	v_dual_mov_b32 v14, s12 :: v_dual_mov_b32 v15, s13
	s_wait_loadcnt 0x0
	v_and_b32_e32 v5, s13, v5
	v_and_b32_e32 v4, s12, v4
	s_delay_alu instid0(VALU_DEP_1) | instskip(NEXT) | instid1(VALU_DEP_1)
	v_mul_u64_e32 v[4:5], 24, v[4:5]
	v_add_nc_u64_e32 v[12:13], v[24:25], v[4:5]
	global_store_b64 v[12:13], v[16:17], off
	global_wb scope:SCOPE_SYS
	s_wait_storecnt 0x0
	s_wait_xcnt 0x0
	global_atomic_cmpswap_b64 v[6:7], v9, v[14:17], s[4:5] offset:32 th:TH_ATOMIC_RETURN scope:SCOPE_SYS
	s_wait_loadcnt 0x0
	v_cmpx_ne_u64_e64 v[6:7], v[16:17]
	s_cbranch_execz .LBB4_505
; %bb.503:                              ;   in Loop: Header=BB4_444 Depth=1
	s_mov_b32 s16, 0
.LBB4_504:                              ;   Parent Loop BB4_444 Depth=1
                                        ; =>  This Inner Loop Header: Depth=2
	v_dual_mov_b32 v4, s12 :: v_dual_mov_b32 v5, s13
	s_sleep 1
	global_store_b64 v[12:13], v[6:7], off
	global_wb scope:SCOPE_SYS
	s_wait_storecnt 0x0
	s_wait_xcnt 0x0
	global_atomic_cmpswap_b64 v[4:5], v9, v[4:7], s[4:5] offset:32 th:TH_ATOMIC_RETURN scope:SCOPE_SYS
	s_wait_loadcnt 0x0
	v_cmp_eq_u64_e32 vcc_lo, v[4:5], v[6:7]
	v_mov_b64_e32 v[6:7], v[4:5]
	s_or_b32 s16, vcc_lo, s16
	s_delay_alu instid0(SALU_CYCLE_1)
	s_and_not1_b32 exec_lo, exec_lo, s16
	s_cbranch_execnz .LBB4_504
.LBB4_505:                              ;   in Loop: Header=BB4_444 Depth=1
	s_or_b32 exec_lo, exec_lo, s15
	global_load_b64 v[4:5], v9, s[4:5] offset:16
	s_mov_b32 s16, exec_lo
	s_mov_b32 s15, exec_lo
	v_mbcnt_lo_u32_b32 v1, s16, 0
	s_wait_xcnt 0x0
	s_delay_alu instid0(VALU_DEP_1)
	v_cmpx_eq_u32_e32 0, v1
	s_cbranch_execz .LBB4_507
; %bb.506:                              ;   in Loop: Header=BB4_444 Depth=1
	s_bcnt1_i32_b32 s16, s16
	s_delay_alu instid0(SALU_CYCLE_1)
	v_mov_b32_e32 v8, s16
	global_wb scope:SCOPE_SYS
	s_wait_loadcnt 0x0
	s_wait_storecnt 0x0
	global_atomic_add_u64 v[4:5], v[8:9], off offset:8 scope:SCOPE_SYS
.LBB4_507:                              ;   in Loop: Header=BB4_444 Depth=1
	s_wait_xcnt 0x0
	s_or_b32 exec_lo, exec_lo, s15
	s_wait_loadcnt 0x0
	global_load_b64 v[6:7], v[4:5], off offset:16
	s_wait_loadcnt 0x0
	v_cmp_eq_u64_e32 vcc_lo, 0, v[6:7]
	s_cbranch_vccnz .LBB4_509
; %bb.508:                              ;   in Loop: Header=BB4_444 Depth=1
	global_load_b32 v8, v[4:5], off offset:24
	s_wait_loadcnt 0x0
	v_readfirstlane_b32 s15, v8
	global_wb scope:SCOPE_SYS
	s_wait_storecnt 0x0
	s_wait_xcnt 0x0
	global_store_b64 v[6:7], v[8:9], off scope:SCOPE_SYS
	s_and_b32 m0, s15, 0xffffff
	s_sendmsg sendmsg(MSG_INTERRUPT)
.LBB4_509:                              ;   in Loop: Header=BB4_444 Depth=1
	s_wait_xcnt 0x0
	s_or_b32 exec_lo, exec_lo, s14
	v_mov_b32_e32 v1, v9
	s_delay_alu instid0(VALU_DEP_1)
	v_add_nc_u64_e32 v[4:5], v[26:27], v[0:1]
	s_branch .LBB4_513
.LBB4_510:                              ;   in Loop: Header=BB4_513 Depth=2
	s_wait_xcnt 0x0
	s_or_b32 exec_lo, exec_lo, s14
	s_delay_alu instid0(VALU_DEP_1)
	v_readfirstlane_b32 s14, v1
	s_cmp_eq_u32 s14, 0
	s_cbranch_scc1 .LBB4_512
; %bb.511:                              ;   in Loop: Header=BB4_513 Depth=2
	s_sleep 1
	s_cbranch_execnz .LBB4_513
	s_branch .LBB4_515
.LBB4_512:                              ;   in Loop: Header=BB4_444 Depth=1
	s_branch .LBB4_515
.LBB4_513:                              ;   Parent Loop BB4_444 Depth=1
                                        ; =>  This Inner Loop Header: Depth=2
	v_mov_b32_e32 v1, 1
	s_and_saveexec_b32 s14, s3
	s_cbranch_execz .LBB4_510
; %bb.514:                              ;   in Loop: Header=BB4_513 Depth=2
	global_load_b32 v1, v[32:33], off offset:20 scope:SCOPE_SYS
	s_wait_loadcnt 0x0
	global_inv scope:SCOPE_SYS
	v_and_b32_e32 v1, 1, v1
	s_branch .LBB4_510
.LBB4_515:                              ;   in Loop: Header=BB4_444 Depth=1
	global_load_b64 v[4:5], v[4:5], off
	s_wait_xcnt 0x0
	s_and_saveexec_b32 s14, s3
	s_cbranch_execz .LBB4_443
; %bb.516:                              ;   in Loop: Header=BB4_444 Depth=1
	s_clause 0x2
	global_load_b64 v[6:7], v9, s[4:5] offset:40
	global_load_b64 v[16:17], v9, s[4:5] offset:24 scope:SCOPE_SYS
	global_load_b64 v[12:13], v9, s[4:5]
	s_wait_loadcnt 0x2
	v_readfirstlane_b32 s16, v6
	v_readfirstlane_b32 s17, v7
	s_add_nc_u64 s[18:19], s[16:17], 1
	s_delay_alu instid0(SALU_CYCLE_1) | instskip(NEXT) | instid1(SALU_CYCLE_1)
	s_add_nc_u64 s[12:13], s[18:19], s[12:13]
	s_cmp_eq_u64 s[12:13], 0
	s_cselect_b32 s13, s19, s13
	s_cselect_b32 s12, s18, s12
	s_delay_alu instid0(SALU_CYCLE_1) | instskip(SKIP_1) | instid1(SALU_CYCLE_1)
	v_dual_mov_b32 v15, s13 :: v_dual_mov_b32 v14, s12
	s_and_b64 s[16:17], s[12:13], s[16:17]
	s_mul_u64 s[16:17], s[16:17], 24
	s_wait_loadcnt 0x0
	v_add_nc_u64_e32 v[6:7], s[16:17], v[12:13]
	global_store_b64 v[6:7], v[16:17], off
	global_wb scope:SCOPE_SYS
	s_wait_storecnt 0x0
	s_wait_xcnt 0x0
	global_atomic_cmpswap_b64 v[14:15], v9, v[14:17], s[4:5] offset:24 th:TH_ATOMIC_RETURN scope:SCOPE_SYS
	s_wait_loadcnt 0x0
	v_cmp_ne_u64_e32 vcc_lo, v[14:15], v[16:17]
	s_and_b32 exec_lo, exec_lo, vcc_lo
	s_cbranch_execz .LBB4_443
; %bb.517:                              ;   in Loop: Header=BB4_444 Depth=1
	s_mov_b32 s3, 0
.LBB4_518:                              ;   Parent Loop BB4_444 Depth=1
                                        ; =>  This Inner Loop Header: Depth=2
	v_dual_mov_b32 v12, s12 :: v_dual_mov_b32 v13, s13
	s_sleep 1
	global_store_b64 v[6:7], v[14:15], off
	global_wb scope:SCOPE_SYS
	s_wait_storecnt 0x0
	s_wait_xcnt 0x0
	global_atomic_cmpswap_b64 v[12:13], v9, v[12:15], s[4:5] offset:24 th:TH_ATOMIC_RETURN scope:SCOPE_SYS
	s_wait_loadcnt 0x0
	v_cmp_eq_u64_e32 vcc_lo, v[12:13], v[14:15]
	v_mov_b64_e32 v[14:15], v[12:13]
	s_or_b32 s3, vcc_lo, s3
	s_delay_alu instid0(SALU_CYCLE_1)
	s_and_not1_b32 exec_lo, exec_lo, s3
	s_cbranch_execnz .LBB4_518
	s_branch .LBB4_443
.LBB4_519:
	s_branch .LBB4_548
.LBB4_520:
                                        ; implicit-def: $vgpr4_vgpr5
	s_cbranch_execz .LBB4_548
; %bb.521:
	v_readfirstlane_b32 s3, v29
	s_wait_loadcnt 0x0
	v_mov_b64_e32 v[4:5], 0
	s_delay_alu instid0(VALU_DEP_2)
	v_cmp_eq_u32_e64 s3, s3, v29
	s_and_saveexec_b32 s6, s3
	s_cbranch_execz .LBB4_527
; %bb.522:
	v_mov_b32_e32 v1, 0
	s_mov_b32 s7, exec_lo
	global_load_b64 v[6:7], v1, s[4:5] offset:24 scope:SCOPE_SYS
	s_wait_loadcnt 0x0
	global_inv scope:SCOPE_SYS
	s_clause 0x1
	global_load_b64 v[4:5], v1, s[4:5] offset:40
	global_load_b64 v[8:9], v1, s[4:5]
	s_wait_loadcnt 0x1
	v_and_b32_e32 v4, v4, v6
	v_and_b32_e32 v5, v5, v7
	s_delay_alu instid0(VALU_DEP_1) | instskip(SKIP_1) | instid1(VALU_DEP_1)
	v_mul_u64_e32 v[4:5], 24, v[4:5]
	s_wait_loadcnt 0x0
	v_add_nc_u64_e32 v[4:5], v[8:9], v[4:5]
	global_load_b64 v[4:5], v[4:5], off scope:SCOPE_SYS
	s_wait_xcnt 0x0
	s_wait_loadcnt 0x0
	global_atomic_cmpswap_b64 v[4:5], v1, v[4:7], s[4:5] offset:24 th:TH_ATOMIC_RETURN scope:SCOPE_SYS
	s_wait_loadcnt 0x0
	global_inv scope:SCOPE_SYS
	s_wait_xcnt 0x0
	v_cmpx_ne_u64_e64 v[4:5], v[6:7]
	s_cbranch_execz .LBB4_526
; %bb.523:
	s_mov_b32 s8, 0
.LBB4_524:                              ; =>This Inner Loop Header: Depth=1
	s_sleep 1
	s_clause 0x1
	global_load_b64 v[8:9], v1, s[4:5] offset:40
	global_load_b64 v[10:11], v1, s[4:5]
	v_mov_b64_e32 v[6:7], v[4:5]
	s_wait_loadcnt 0x1
	s_delay_alu instid0(VALU_DEP_1) | instskip(NEXT) | instid1(VALU_DEP_2)
	v_and_b32_e32 v4, v8, v6
	v_and_b32_e32 v8, v9, v7
	s_wait_loadcnt 0x0
	s_delay_alu instid0(VALU_DEP_2) | instskip(NEXT) | instid1(VALU_DEP_1)
	v_mad_nc_u64_u32 v[4:5], v4, 24, v[10:11]
	v_mad_u32 v5, v8, 24, v5
	global_load_b64 v[4:5], v[4:5], off scope:SCOPE_SYS
	s_wait_xcnt 0x0
	s_wait_loadcnt 0x0
	global_atomic_cmpswap_b64 v[4:5], v1, v[4:7], s[4:5] offset:24 th:TH_ATOMIC_RETURN scope:SCOPE_SYS
	s_wait_loadcnt 0x0
	global_inv scope:SCOPE_SYS
	v_cmp_eq_u64_e32 vcc_lo, v[4:5], v[6:7]
	s_or_b32 s8, vcc_lo, s8
	s_wait_xcnt 0x0
	s_and_not1_b32 exec_lo, exec_lo, s8
	s_cbranch_execnz .LBB4_524
; %bb.525:
	s_or_b32 exec_lo, exec_lo, s8
.LBB4_526:
	s_delay_alu instid0(SALU_CYCLE_1)
	s_or_b32 exec_lo, exec_lo, s7
.LBB4_527:
	s_delay_alu instid0(SALU_CYCLE_1)
	s_or_b32 exec_lo, exec_lo, s6
	v_readfirstlane_b32 s6, v4
	v_mov_b32_e32 v1, 0
	v_readfirstlane_b32 s7, v5
	s_mov_b32 s8, exec_lo
	s_clause 0x1
	global_load_b64 v[10:11], v1, s[4:5] offset:40
	global_load_b128 v[6:9], v1, s[4:5]
	s_wait_loadcnt 0x1
	v_and_b32_e32 v4, s6, v10
	v_and_b32_e32 v5, s7, v11
	s_delay_alu instid0(VALU_DEP_1) | instskip(SKIP_1) | instid1(VALU_DEP_1)
	v_mul_u64_e32 v[10:11], 24, v[4:5]
	s_wait_loadcnt 0x0
	v_add_nc_u64_e32 v[10:11], v[6:7], v[10:11]
	s_wait_xcnt 0x0
	s_and_saveexec_b32 s9, s3
	s_cbranch_execz .LBB4_529
; %bb.528:
	v_mov_b64_e32 v[14:15], 0x100000002
	v_dual_mov_b32 v12, s8 :: v_dual_mov_b32 v13, v1
	global_store_b128 v[10:11], v[12:15], off offset:8
.LBB4_529:
	s_wait_xcnt 0x0
	s_or_b32 exec_lo, exec_lo, s9
	v_lshlrev_b64_e32 v[4:5], 12, v[4:5]
	s_mov_b32 s8, 0
	v_and_or_b32 v2, 0xffffff1f, v2, 32
	s_mov_b32 s10, s8
	s_mov_b32 s11, s8
	;; [unrolled: 1-line block ×3, first 2 shown]
	v_mov_b64_e32 v[14:15], s[10:11]
	v_add_nc_u64_e32 v[8:9], v[8:9], v[4:5]
	v_mov_b64_e32 v[12:13], s[8:9]
	v_dual_mov_b32 v4, v1 :: v_dual_mov_b32 v5, v1
	s_delay_alu instid0(VALU_DEP_3) | instskip(NEXT) | instid1(VALU_DEP_4)
	v_readfirstlane_b32 s12, v8
	v_readfirstlane_b32 s13, v9
	s_clause 0x3
	global_store_b128 v0, v[2:5], s[12:13]
	global_store_b128 v0, v[12:15], s[12:13] offset:16
	global_store_b128 v0, v[12:15], s[12:13] offset:32
	;; [unrolled: 1-line block ×3, first 2 shown]
	s_wait_xcnt 0x0
	s_and_saveexec_b32 s8, s3
	s_cbranch_execz .LBB4_537
; %bb.530:
	v_dual_mov_b32 v12, 0 :: v_dual_mov_b32 v15, s7
	s_mov_b32 s9, exec_lo
	s_clause 0x1
	global_load_b64 v[16:17], v12, s[4:5] offset:32 scope:SCOPE_SYS
	global_load_b64 v[2:3], v12, s[4:5] offset:40
	s_wait_loadcnt 0x0
	v_dual_mov_b32 v14, s6 :: v_dual_bitop2_b32 v3, s7, v3 bitop3:0x40
	v_and_b32_e32 v2, s6, v2
	s_delay_alu instid0(VALU_DEP_1) | instskip(NEXT) | instid1(VALU_DEP_1)
	v_mul_u64_e32 v[2:3], 24, v[2:3]
	v_add_nc_u64_e32 v[6:7], v[6:7], v[2:3]
	global_store_b64 v[6:7], v[16:17], off
	global_wb scope:SCOPE_SYS
	s_wait_storecnt 0x0
	s_wait_xcnt 0x0
	global_atomic_cmpswap_b64 v[4:5], v12, v[14:17], s[4:5] offset:32 th:TH_ATOMIC_RETURN scope:SCOPE_SYS
	s_wait_loadcnt 0x0
	v_cmpx_ne_u64_e64 v[4:5], v[16:17]
	s_cbranch_execz .LBB4_533
; %bb.531:
	s_mov_b32 s10, 0
.LBB4_532:                              ; =>This Inner Loop Header: Depth=1
	v_dual_mov_b32 v2, s6 :: v_dual_mov_b32 v3, s7
	s_sleep 1
	global_store_b64 v[6:7], v[4:5], off
	global_wb scope:SCOPE_SYS
	s_wait_storecnt 0x0
	s_wait_xcnt 0x0
	global_atomic_cmpswap_b64 v[2:3], v12, v[2:5], s[4:5] offset:32 th:TH_ATOMIC_RETURN scope:SCOPE_SYS
	s_wait_loadcnt 0x0
	v_cmp_eq_u64_e32 vcc_lo, v[2:3], v[4:5]
	v_mov_b64_e32 v[4:5], v[2:3]
	s_or_b32 s10, vcc_lo, s10
	s_delay_alu instid0(SALU_CYCLE_1)
	s_and_not1_b32 exec_lo, exec_lo, s10
	s_cbranch_execnz .LBB4_532
.LBB4_533:
	s_or_b32 exec_lo, exec_lo, s9
	v_mov_b32_e32 v5, 0
	s_mov_b32 s10, exec_lo
	s_mov_b32 s9, exec_lo
	v_mbcnt_lo_u32_b32 v4, s10, 0
	global_load_b64 v[2:3], v5, s[4:5] offset:16
	s_wait_xcnt 0x0
	v_cmpx_eq_u32_e32 0, v4
	s_cbranch_execz .LBB4_535
; %bb.534:
	s_bcnt1_i32_b32 s10, s10
	s_delay_alu instid0(SALU_CYCLE_1)
	v_mov_b32_e32 v4, s10
	global_wb scope:SCOPE_SYS
	s_wait_loadcnt 0x0
	s_wait_storecnt 0x0
	global_atomic_add_u64 v[2:3], v[4:5], off offset:8 scope:SCOPE_SYS
.LBB4_535:
	s_wait_xcnt 0x0
	s_or_b32 exec_lo, exec_lo, s9
	s_wait_loadcnt 0x0
	global_load_b64 v[4:5], v[2:3], off offset:16
	s_wait_loadcnt 0x0
	v_cmp_eq_u64_e32 vcc_lo, 0, v[4:5]
	s_cbranch_vccnz .LBB4_537
; %bb.536:
	global_load_b32 v2, v[2:3], off offset:24
	s_wait_xcnt 0x0
	v_mov_b32_e32 v3, 0
	s_wait_loadcnt 0x0
	v_readfirstlane_b32 s9, v2
	global_wb scope:SCOPE_SYS
	s_wait_storecnt 0x0
	global_store_b64 v[4:5], v[2:3], off scope:SCOPE_SYS
	s_and_b32 m0, s9, 0xffffff
	s_sendmsg sendmsg(MSG_INTERRUPT)
.LBB4_537:
	s_wait_xcnt 0x0
	s_or_b32 exec_lo, exec_lo, s8
	v_add_nc_u64_e32 v[2:3], v[8:9], v[0:1]
	s_branch .LBB4_541
.LBB4_538:                              ;   in Loop: Header=BB4_541 Depth=1
	s_wait_xcnt 0x0
	s_or_b32 exec_lo, exec_lo, s8
	s_delay_alu instid0(VALU_DEP_1)
	v_readfirstlane_b32 s8, v1
	s_cmp_eq_u32 s8, 0
	s_cbranch_scc1 .LBB4_540
; %bb.539:                              ;   in Loop: Header=BB4_541 Depth=1
	s_sleep 1
	s_cbranch_execnz .LBB4_541
	s_branch .LBB4_543
.LBB4_540:
	s_branch .LBB4_543
.LBB4_541:                              ; =>This Inner Loop Header: Depth=1
	v_mov_b32_e32 v1, 1
	s_and_saveexec_b32 s8, s3
	s_cbranch_execz .LBB4_538
; %bb.542:                              ;   in Loop: Header=BB4_541 Depth=1
	global_load_b32 v1, v[10:11], off offset:20 scope:SCOPE_SYS
	s_wait_loadcnt 0x0
	global_inv scope:SCOPE_SYS
	v_and_b32_e32 v1, 1, v1
	s_branch .LBB4_538
.LBB4_543:
	global_load_b64 v[4:5], v[2:3], off
	s_wait_xcnt 0x0
	s_and_saveexec_b32 s8, s3
	s_cbranch_execz .LBB4_547
; %bb.544:
	v_mov_b32_e32 v1, 0
	s_clause 0x2
	global_load_b64 v[2:3], v1, s[4:5] offset:40
	global_load_b64 v[10:11], v1, s[4:5] offset:24 scope:SCOPE_SYS
	global_load_b64 v[6:7], v1, s[4:5]
	s_wait_loadcnt 0x2
	v_readfirstlane_b32 s10, v2
	v_readfirstlane_b32 s11, v3
	s_add_nc_u64 s[12:13], s[10:11], 1
	s_delay_alu instid0(SALU_CYCLE_1) | instskip(NEXT) | instid1(SALU_CYCLE_1)
	s_add_nc_u64 s[6:7], s[12:13], s[6:7]
	s_cmp_eq_u64 s[6:7], 0
	s_cselect_b32 s7, s13, s7
	s_cselect_b32 s6, s12, s6
	v_mov_b32_e32 v9, s7
	s_and_b64 s[10:11], s[6:7], s[10:11]
	v_mov_b32_e32 v8, s6
	s_mul_u64 s[10:11], s[10:11], 24
	s_wait_loadcnt 0x0
	v_add_nc_u64_e32 v[2:3], s[10:11], v[6:7]
	global_store_b64 v[2:3], v[10:11], off
	global_wb scope:SCOPE_SYS
	s_wait_storecnt 0x0
	s_wait_xcnt 0x0
	global_atomic_cmpswap_b64 v[8:9], v1, v[8:11], s[4:5] offset:24 th:TH_ATOMIC_RETURN scope:SCOPE_SYS
	s_wait_loadcnt 0x0
	v_cmp_ne_u64_e32 vcc_lo, v[8:9], v[10:11]
	s_and_b32 exec_lo, exec_lo, vcc_lo
	s_cbranch_execz .LBB4_547
; %bb.545:
	s_mov_b32 s3, 0
.LBB4_546:                              ; =>This Inner Loop Header: Depth=1
	v_dual_mov_b32 v6, s6 :: v_dual_mov_b32 v7, s7
	s_sleep 1
	global_store_b64 v[2:3], v[8:9], off
	global_wb scope:SCOPE_SYS
	s_wait_storecnt 0x0
	s_wait_xcnt 0x0
	global_atomic_cmpswap_b64 v[6:7], v1, v[6:9], s[4:5] offset:24 th:TH_ATOMIC_RETURN scope:SCOPE_SYS
	s_wait_loadcnt 0x0
	v_cmp_eq_u64_e32 vcc_lo, v[6:7], v[8:9]
	v_mov_b64_e32 v[8:9], v[6:7]
	s_or_b32 s3, vcc_lo, s3
	s_delay_alu instid0(SALU_CYCLE_1)
	s_and_not1_b32 exec_lo, exec_lo, s3
	s_cbranch_execnz .LBB4_546
.LBB4_547:
	s_or_b32 exec_lo, exec_lo, s8
.LBB4_548:
	v_readfirstlane_b32 s3, v29
	s_wait_loadcnt 0x0
	v_mov_b64_e32 v[2:3], 0
	s_delay_alu instid0(VALU_DEP_2)
	v_cmp_eq_u32_e64 s3, s3, v29
	s_and_saveexec_b32 s6, s3
	s_cbranch_execz .LBB4_554
; %bb.549:
	v_mov_b32_e32 v1, 0
	s_mov_b32 s7, exec_lo
	global_load_b64 v[8:9], v1, s[4:5] offset:24 scope:SCOPE_SYS
	s_wait_loadcnt 0x0
	global_inv scope:SCOPE_SYS
	s_clause 0x1
	global_load_b64 v[2:3], v1, s[4:5] offset:40
	global_load_b64 v[6:7], v1, s[4:5]
	s_wait_loadcnt 0x1
	v_and_b32_e32 v2, v2, v8
	v_and_b32_e32 v3, v3, v9
	s_delay_alu instid0(VALU_DEP_1) | instskip(SKIP_1) | instid1(VALU_DEP_1)
	v_mul_u64_e32 v[2:3], 24, v[2:3]
	s_wait_loadcnt 0x0
	v_add_nc_u64_e32 v[2:3], v[6:7], v[2:3]
	global_load_b64 v[6:7], v[2:3], off scope:SCOPE_SYS
	s_wait_xcnt 0x0
	s_wait_loadcnt 0x0
	global_atomic_cmpswap_b64 v[2:3], v1, v[6:9], s[4:5] offset:24 th:TH_ATOMIC_RETURN scope:SCOPE_SYS
	s_wait_loadcnt 0x0
	global_inv scope:SCOPE_SYS
	s_wait_xcnt 0x0
	v_cmpx_ne_u64_e64 v[2:3], v[8:9]
	s_cbranch_execz .LBB4_553
; %bb.550:
	s_mov_b32 s8, 0
.LBB4_551:                              ; =>This Inner Loop Header: Depth=1
	s_sleep 1
	s_clause 0x1
	global_load_b64 v[6:7], v1, s[4:5] offset:40
	global_load_b64 v[10:11], v1, s[4:5]
	v_mov_b64_e32 v[8:9], v[2:3]
	s_wait_loadcnt 0x1
	s_delay_alu instid0(VALU_DEP_1) | instskip(NEXT) | instid1(VALU_DEP_2)
	v_and_b32_e32 v2, v6, v8
	v_and_b32_e32 v6, v7, v9
	s_wait_loadcnt 0x0
	s_delay_alu instid0(VALU_DEP_2) | instskip(NEXT) | instid1(VALU_DEP_1)
	v_mad_nc_u64_u32 v[2:3], v2, 24, v[10:11]
	v_mad_u32 v3, v6, 24, v3
	global_load_b64 v[6:7], v[2:3], off scope:SCOPE_SYS
	s_wait_xcnt 0x0
	s_wait_loadcnt 0x0
	global_atomic_cmpswap_b64 v[2:3], v1, v[6:9], s[4:5] offset:24 th:TH_ATOMIC_RETURN scope:SCOPE_SYS
	s_wait_loadcnt 0x0
	global_inv scope:SCOPE_SYS
	v_cmp_eq_u64_e32 vcc_lo, v[2:3], v[8:9]
	s_or_b32 s8, vcc_lo, s8
	s_wait_xcnt 0x0
	s_and_not1_b32 exec_lo, exec_lo, s8
	s_cbranch_execnz .LBB4_551
; %bb.552:
	s_or_b32 exec_lo, exec_lo, s8
.LBB4_553:
	s_delay_alu instid0(SALU_CYCLE_1)
	s_or_b32 exec_lo, exec_lo, s7
.LBB4_554:
	s_delay_alu instid0(SALU_CYCLE_1)
	s_or_b32 exec_lo, exec_lo, s6
	v_readfirstlane_b32 s6, v2
	v_mov_b32_e32 v1, 0
	v_readfirstlane_b32 s7, v3
	s_mov_b32 s8, exec_lo
	s_clause 0x1
	global_load_b64 v[6:7], v1, s[4:5] offset:40
	global_load_b128 v[8:11], v1, s[4:5]
	s_wait_loadcnt 0x1
	v_and_b32_e32 v2, s6, v6
	v_and_b32_e32 v3, s7, v7
	s_delay_alu instid0(VALU_DEP_1) | instskip(SKIP_1) | instid1(VALU_DEP_1)
	v_mul_u64_e32 v[6:7], 24, v[2:3]
	s_wait_loadcnt 0x0
	v_add_nc_u64_e32 v[12:13], v[8:9], v[6:7]
	s_wait_xcnt 0x0
	s_and_saveexec_b32 s9, s3
	s_cbranch_execz .LBB4_556
; %bb.555:
	v_mov_b64_e32 v[16:17], 0x100000002
	v_dual_mov_b32 v14, s8 :: v_dual_mov_b32 v15, v1
	global_store_b128 v[12:13], v[14:17], off offset:8
.LBB4_556:
	s_wait_xcnt 0x0
	s_or_b32 exec_lo, exec_lo, s9
	v_lshlrev_b64_e32 v[2:3], 12, v[2:3]
	s_mov_b32 s8, 0
	v_and_or_b32 v4, 0xffffff1f, v4, 32
	s_mov_b32 s10, s8
	s_mov_b32 s11, s8
	s_mov_b32 s9, s8
	v_mov_b64_e32 v[16:17], s[10:11]
	v_add_nc_u64_e32 v[10:11], v[10:11], v[2:3]
	v_mov_b64_e32 v[14:15], s[8:9]
	v_dual_mov_b32 v6, 7 :: v_dual_mov_b32 v7, v1
	s_delay_alu instid0(VALU_DEP_3) | instskip(NEXT) | instid1(VALU_DEP_4)
	v_readfirstlane_b32 s12, v10
	v_readfirstlane_b32 s13, v11
	s_clause 0x3
	global_store_b128 v0, v[4:7], s[12:13]
	global_store_b128 v0, v[14:17], s[12:13] offset:16
	global_store_b128 v0, v[14:17], s[12:13] offset:32
	;; [unrolled: 1-line block ×3, first 2 shown]
	s_wait_xcnt 0x0
	s_and_saveexec_b32 s8, s3
	s_cbranch_execz .LBB4_564
; %bb.557:
	v_dual_mov_b32 v14, 0 :: v_dual_mov_b32 v17, s7
	s_mov_b32 s9, exec_lo
	s_clause 0x1
	global_load_b64 v[18:19], v14, s[4:5] offset:32 scope:SCOPE_SYS
	global_load_b64 v[2:3], v14, s[4:5] offset:40
	s_wait_loadcnt 0x0
	v_dual_mov_b32 v16, s6 :: v_dual_bitop2_b32 v3, s7, v3 bitop3:0x40
	v_and_b32_e32 v2, s6, v2
	s_delay_alu instid0(VALU_DEP_1) | instskip(NEXT) | instid1(VALU_DEP_1)
	v_mul_u64_e32 v[2:3], 24, v[2:3]
	v_add_nc_u64_e32 v[6:7], v[8:9], v[2:3]
	global_store_b64 v[6:7], v[18:19], off
	global_wb scope:SCOPE_SYS
	s_wait_storecnt 0x0
	s_wait_xcnt 0x0
	global_atomic_cmpswap_b64 v[4:5], v14, v[16:19], s[4:5] offset:32 th:TH_ATOMIC_RETURN scope:SCOPE_SYS
	s_wait_loadcnt 0x0
	v_cmpx_ne_u64_e64 v[4:5], v[18:19]
	s_cbranch_execz .LBB4_560
; %bb.558:
	s_mov_b32 s10, 0
.LBB4_559:                              ; =>This Inner Loop Header: Depth=1
	v_dual_mov_b32 v2, s6 :: v_dual_mov_b32 v3, s7
	s_sleep 1
	global_store_b64 v[6:7], v[4:5], off
	global_wb scope:SCOPE_SYS
	s_wait_storecnt 0x0
	s_wait_xcnt 0x0
	global_atomic_cmpswap_b64 v[2:3], v14, v[2:5], s[4:5] offset:32 th:TH_ATOMIC_RETURN scope:SCOPE_SYS
	s_wait_loadcnt 0x0
	v_cmp_eq_u64_e32 vcc_lo, v[2:3], v[4:5]
	v_mov_b64_e32 v[4:5], v[2:3]
	s_or_b32 s10, vcc_lo, s10
	s_delay_alu instid0(SALU_CYCLE_1)
	s_and_not1_b32 exec_lo, exec_lo, s10
	s_cbranch_execnz .LBB4_559
.LBB4_560:
	s_or_b32 exec_lo, exec_lo, s9
	v_mov_b32_e32 v5, 0
	s_mov_b32 s10, exec_lo
	s_mov_b32 s9, exec_lo
	v_mbcnt_lo_u32_b32 v4, s10, 0
	global_load_b64 v[2:3], v5, s[4:5] offset:16
	s_wait_xcnt 0x0
	v_cmpx_eq_u32_e32 0, v4
	s_cbranch_execz .LBB4_562
; %bb.561:
	s_bcnt1_i32_b32 s10, s10
	s_delay_alu instid0(SALU_CYCLE_1)
	v_mov_b32_e32 v4, s10
	global_wb scope:SCOPE_SYS
	s_wait_loadcnt 0x0
	s_wait_storecnt 0x0
	global_atomic_add_u64 v[2:3], v[4:5], off offset:8 scope:SCOPE_SYS
.LBB4_562:
	s_wait_xcnt 0x0
	s_or_b32 exec_lo, exec_lo, s9
	s_wait_loadcnt 0x0
	global_load_b64 v[4:5], v[2:3], off offset:16
	s_wait_loadcnt 0x0
	v_cmp_eq_u64_e32 vcc_lo, 0, v[4:5]
	s_cbranch_vccnz .LBB4_564
; %bb.563:
	global_load_b32 v2, v[2:3], off offset:24
	s_wait_xcnt 0x0
	v_mov_b32_e32 v3, 0
	s_wait_loadcnt 0x0
	v_readfirstlane_b32 s9, v2
	global_wb scope:SCOPE_SYS
	s_wait_storecnt 0x0
	global_store_b64 v[4:5], v[2:3], off scope:SCOPE_SYS
	s_and_b32 m0, s9, 0xffffff
	s_sendmsg sendmsg(MSG_INTERRUPT)
.LBB4_564:
	s_wait_xcnt 0x0
	s_or_b32 exec_lo, exec_lo, s8
	v_add_nc_u64_e32 v[2:3], v[10:11], v[0:1]
	s_branch .LBB4_568
.LBB4_565:                              ;   in Loop: Header=BB4_568 Depth=1
	s_wait_xcnt 0x0
	s_or_b32 exec_lo, exec_lo, s8
	s_delay_alu instid0(VALU_DEP_1)
	v_readfirstlane_b32 s8, v1
	s_cmp_eq_u32 s8, 0
	s_cbranch_scc1 .LBB4_567
; %bb.566:                              ;   in Loop: Header=BB4_568 Depth=1
	s_sleep 1
	s_cbranch_execnz .LBB4_568
	s_branch .LBB4_570
.LBB4_567:
	s_branch .LBB4_570
.LBB4_568:                              ; =>This Inner Loop Header: Depth=1
	v_mov_b32_e32 v1, 1
	s_and_saveexec_b32 s8, s3
	s_cbranch_execz .LBB4_565
; %bb.569:                              ;   in Loop: Header=BB4_568 Depth=1
	global_load_b32 v1, v[12:13], off offset:20 scope:SCOPE_SYS
	s_wait_loadcnt 0x0
	global_inv scope:SCOPE_SYS
	v_and_b32_e32 v1, 1, v1
	s_branch .LBB4_565
.LBB4_570:
	global_load_b64 v[2:3], v[2:3], off
	s_wait_xcnt 0x0
	s_and_saveexec_b32 s8, s3
	s_cbranch_execz .LBB4_574
; %bb.571:
	v_mov_b32_e32 v1, 0
	s_clause 0x2
	global_load_b64 v[4:5], v1, s[4:5] offset:40
	global_load_b64 v[12:13], v1, s[4:5] offset:24 scope:SCOPE_SYS
	global_load_b64 v[6:7], v1, s[4:5]
	s_wait_loadcnt 0x2
	v_readfirstlane_b32 s10, v4
	v_readfirstlane_b32 s11, v5
	s_add_nc_u64 s[12:13], s[10:11], 1
	s_delay_alu instid0(SALU_CYCLE_1) | instskip(NEXT) | instid1(SALU_CYCLE_1)
	s_add_nc_u64 s[6:7], s[12:13], s[6:7]
	s_cmp_eq_u64 s[6:7], 0
	s_cselect_b32 s7, s13, s7
	s_cselect_b32 s6, s12, s6
	v_mov_b32_e32 v11, s7
	s_and_b64 s[10:11], s[6:7], s[10:11]
	v_mov_b32_e32 v10, s6
	s_mul_u64 s[10:11], s[10:11], 24
	s_wait_loadcnt 0x0
	v_add_nc_u64_e32 v[8:9], s[10:11], v[6:7]
	global_store_b64 v[8:9], v[12:13], off
	global_wb scope:SCOPE_SYS
	s_wait_storecnt 0x0
	s_wait_xcnt 0x0
	global_atomic_cmpswap_b64 v[6:7], v1, v[10:13], s[4:5] offset:24 th:TH_ATOMIC_RETURN scope:SCOPE_SYS
	s_wait_loadcnt 0x0
	v_cmp_ne_u64_e32 vcc_lo, v[6:7], v[12:13]
	s_and_b32 exec_lo, exec_lo, vcc_lo
	s_cbranch_execz .LBB4_574
; %bb.572:
	s_mov_b32 s3, 0
.LBB4_573:                              ; =>This Inner Loop Header: Depth=1
	v_dual_mov_b32 v4, s6 :: v_dual_mov_b32 v5, s7
	s_sleep 1
	global_store_b64 v[8:9], v[6:7], off
	global_wb scope:SCOPE_SYS
	s_wait_storecnt 0x0
	s_wait_xcnt 0x0
	global_atomic_cmpswap_b64 v[4:5], v1, v[4:7], s[4:5] offset:24 th:TH_ATOMIC_RETURN scope:SCOPE_SYS
	s_wait_loadcnt 0x0
	v_cmp_eq_u64_e32 vcc_lo, v[4:5], v[6:7]
	v_mov_b64_e32 v[6:7], v[4:5]
	s_or_b32 s3, vcc_lo, s3
	s_delay_alu instid0(SALU_CYCLE_1)
	s_and_not1_b32 exec_lo, exec_lo, s3
	s_cbranch_execnz .LBB4_573
.LBB4_574:
	s_or_b32 exec_lo, exec_lo, s8
	v_readfirstlane_b32 s3, v29
	v_mov_b64_e32 v[4:5], 0
	s_delay_alu instid0(VALU_DEP_2)
	v_cmp_eq_u32_e64 s3, s3, v29
	s_and_saveexec_b32 s6, s3
	s_cbranch_execz .LBB4_580
; %bb.575:
	v_mov_b32_e32 v1, 0
	s_mov_b32 s7, exec_lo
	global_load_b64 v[6:7], v1, s[4:5] offset:24 scope:SCOPE_SYS
	s_wait_loadcnt 0x0
	global_inv scope:SCOPE_SYS
	s_clause 0x1
	global_load_b64 v[4:5], v1, s[4:5] offset:40
	global_load_b64 v[8:9], v1, s[4:5]
	s_wait_loadcnt 0x1
	v_and_b32_e32 v4, v4, v6
	v_and_b32_e32 v5, v5, v7
	s_delay_alu instid0(VALU_DEP_1) | instskip(SKIP_1) | instid1(VALU_DEP_1)
	v_mul_u64_e32 v[4:5], 24, v[4:5]
	s_wait_loadcnt 0x0
	v_add_nc_u64_e32 v[4:5], v[8:9], v[4:5]
	global_load_b64 v[4:5], v[4:5], off scope:SCOPE_SYS
	s_wait_xcnt 0x0
	s_wait_loadcnt 0x0
	global_atomic_cmpswap_b64 v[4:5], v1, v[4:7], s[4:5] offset:24 th:TH_ATOMIC_RETURN scope:SCOPE_SYS
	s_wait_loadcnt 0x0
	global_inv scope:SCOPE_SYS
	s_wait_xcnt 0x0
	v_cmpx_ne_u64_e64 v[4:5], v[6:7]
	s_cbranch_execz .LBB4_579
; %bb.576:
	s_mov_b32 s8, 0
.LBB4_577:                              ; =>This Inner Loop Header: Depth=1
	s_sleep 1
	s_clause 0x1
	global_load_b64 v[8:9], v1, s[4:5] offset:40
	global_load_b64 v[10:11], v1, s[4:5]
	v_mov_b64_e32 v[6:7], v[4:5]
	s_wait_loadcnt 0x1
	s_delay_alu instid0(VALU_DEP_1) | instskip(NEXT) | instid1(VALU_DEP_2)
	v_and_b32_e32 v4, v8, v6
	v_and_b32_e32 v8, v9, v7
	s_wait_loadcnt 0x0
	s_delay_alu instid0(VALU_DEP_2) | instskip(NEXT) | instid1(VALU_DEP_1)
	v_mad_nc_u64_u32 v[4:5], v4, 24, v[10:11]
	v_mad_u32 v5, v8, 24, v5
	global_load_b64 v[4:5], v[4:5], off scope:SCOPE_SYS
	s_wait_xcnt 0x0
	s_wait_loadcnt 0x0
	global_atomic_cmpswap_b64 v[4:5], v1, v[4:7], s[4:5] offset:24 th:TH_ATOMIC_RETURN scope:SCOPE_SYS
	s_wait_loadcnt 0x0
	global_inv scope:SCOPE_SYS
	v_cmp_eq_u64_e32 vcc_lo, v[4:5], v[6:7]
	s_or_b32 s8, vcc_lo, s8
	s_wait_xcnt 0x0
	s_and_not1_b32 exec_lo, exec_lo, s8
	s_cbranch_execnz .LBB4_577
; %bb.578:
	s_or_b32 exec_lo, exec_lo, s8
.LBB4_579:
	s_delay_alu instid0(SALU_CYCLE_1)
	s_or_b32 exec_lo, exec_lo, s7
.LBB4_580:
	s_delay_alu instid0(SALU_CYCLE_1)
	s_or_b32 exec_lo, exec_lo, s6
	v_readfirstlane_b32 s6, v4
	v_mov_b32_e32 v1, 0
	v_readfirstlane_b32 s7, v5
	s_mov_b32 s8, exec_lo
	s_clause 0x1
	global_load_b64 v[10:11], v1, s[4:5] offset:40
	global_load_b128 v[6:9], v1, s[4:5]
	s_wait_loadcnt 0x1
	v_and_b32_e32 v4, s6, v10
	v_and_b32_e32 v5, s7, v11
	s_delay_alu instid0(VALU_DEP_1) | instskip(SKIP_1) | instid1(VALU_DEP_1)
	v_mul_u64_e32 v[10:11], 24, v[4:5]
	s_wait_loadcnt 0x0
	v_add_nc_u64_e32 v[10:11], v[6:7], v[10:11]
	s_wait_xcnt 0x0
	s_and_saveexec_b32 s9, s3
	s_cbranch_execz .LBB4_582
; %bb.581:
	v_mov_b64_e32 v[14:15], 0x100000002
	v_dual_mov_b32 v12, s8 :: v_dual_mov_b32 v13, v1
	global_store_b128 v[10:11], v[12:15], off offset:8
.LBB4_582:
	s_wait_xcnt 0x0
	s_or_b32 exec_lo, exec_lo, s9
	v_lshlrev_b64_e32 v[12:13], 12, v[4:5]
	s_mov_b32 s8, 0
	v_dual_cndmask_b32 v4, -1, v31, s2 :: v_dual_mov_b32 v5, v1
	s_mov_b32 s10, s8
	s_mov_b32 s11, s8
	;; [unrolled: 1-line block ×3, first 2 shown]
	s_delay_alu instid0(VALU_DEP_2) | instskip(SKIP_3) | instid1(VALU_DEP_4)
	v_add_nc_u64_e32 v[12:13], v[8:9], v[12:13]
	v_mov_b64_e32 v[16:17], s[10:11]
	v_mov_b64_e32 v[14:15], s[8:9]
	v_and_or_b32 v2, 0xffffff1f, v2, 32
	v_readfirstlane_b32 s12, v12
	v_readfirstlane_b32 s13, v13
	s_clause 0x3
	global_store_b128 v0, v[2:5], s[12:13]
	global_store_b128 v0, v[14:17], s[12:13] offset:16
	global_store_b128 v0, v[14:17], s[12:13] offset:32
	;; [unrolled: 1-line block ×3, first 2 shown]
	s_wait_xcnt 0x0
	s_and_saveexec_b32 s2, s3
	s_cbranch_execz .LBB4_590
; %bb.583:
	v_dual_mov_b32 v5, 0 :: v_dual_mov_b32 v15, s7
	s_mov_b32 s8, exec_lo
	s_clause 0x1
	global_load_b64 v[16:17], v5, s[4:5] offset:32 scope:SCOPE_SYS
	global_load_b64 v[2:3], v5, s[4:5] offset:40
	s_wait_loadcnt 0x0
	v_dual_mov_b32 v14, s6 :: v_dual_bitop2_b32 v3, s7, v3 bitop3:0x40
	v_and_b32_e32 v2, s6, v2
	s_delay_alu instid0(VALU_DEP_1) | instskip(NEXT) | instid1(VALU_DEP_1)
	v_mul_u64_e32 v[2:3], 24, v[2:3]
	v_add_nc_u64_e32 v[2:3], v[6:7], v[2:3]
	global_store_b64 v[2:3], v[16:17], off
	global_wb scope:SCOPE_SYS
	s_wait_storecnt 0x0
	s_wait_xcnt 0x0
	global_atomic_cmpswap_b64 v[8:9], v5, v[14:17], s[4:5] offset:32 th:TH_ATOMIC_RETURN scope:SCOPE_SYS
	s_wait_loadcnt 0x0
	v_cmpx_ne_u64_e64 v[8:9], v[16:17]
	s_cbranch_execz .LBB4_586
; %bb.584:
	s_mov_b32 s9, 0
.LBB4_585:                              ; =>This Inner Loop Header: Depth=1
	v_dual_mov_b32 v6, s6 :: v_dual_mov_b32 v7, s7
	s_sleep 1
	global_store_b64 v[2:3], v[8:9], off
	global_wb scope:SCOPE_SYS
	s_wait_storecnt 0x0
	s_wait_xcnt 0x0
	global_atomic_cmpswap_b64 v[6:7], v5, v[6:9], s[4:5] offset:32 th:TH_ATOMIC_RETURN scope:SCOPE_SYS
	s_wait_loadcnt 0x0
	v_cmp_eq_u64_e32 vcc_lo, v[6:7], v[8:9]
	v_mov_b64_e32 v[8:9], v[6:7]
	s_or_b32 s9, vcc_lo, s9
	s_delay_alu instid0(SALU_CYCLE_1)
	s_and_not1_b32 exec_lo, exec_lo, s9
	s_cbranch_execnz .LBB4_585
.LBB4_586:
	s_or_b32 exec_lo, exec_lo, s8
	v_mov_b32_e32 v7, 0
	s_mov_b32 s9, exec_lo
	s_mov_b32 s8, exec_lo
	v_mbcnt_lo_u32_b32 v5, s9, 0
	global_load_b64 v[2:3], v7, s[4:5] offset:16
	s_wait_xcnt 0x0
	v_cmpx_eq_u32_e32 0, v5
	s_cbranch_execz .LBB4_588
; %bb.587:
	s_bcnt1_i32_b32 s9, s9
	s_delay_alu instid0(SALU_CYCLE_1)
	v_mov_b32_e32 v6, s9
	global_wb scope:SCOPE_SYS
	s_wait_loadcnt 0x0
	s_wait_storecnt 0x0
	global_atomic_add_u64 v[2:3], v[6:7], off offset:8 scope:SCOPE_SYS
.LBB4_588:
	s_wait_xcnt 0x0
	s_or_b32 exec_lo, exec_lo, s8
	s_wait_loadcnt 0x0
	global_load_b64 v[6:7], v[2:3], off offset:16
	s_wait_loadcnt 0x0
	v_cmp_eq_u64_e32 vcc_lo, 0, v[6:7]
	s_cbranch_vccnz .LBB4_590
; %bb.589:
	global_load_b32 v2, v[2:3], off offset:24
	s_wait_xcnt 0x0
	v_mov_b32_e32 v3, 0
	s_wait_loadcnt 0x0
	v_readfirstlane_b32 s8, v2
	global_wb scope:SCOPE_SYS
	s_wait_storecnt 0x0
	global_store_b64 v[6:7], v[2:3], off scope:SCOPE_SYS
	s_and_b32 m0, s8, 0xffffff
	s_sendmsg sendmsg(MSG_INTERRUPT)
.LBB4_590:
	s_wait_xcnt 0x0
	s_or_b32 exec_lo, exec_lo, s2
	v_add_nc_u64_e32 v[2:3], v[12:13], v[0:1]
	s_branch .LBB4_594
.LBB4_591:                              ;   in Loop: Header=BB4_594 Depth=1
	s_wait_xcnt 0x0
	s_or_b32 exec_lo, exec_lo, s2
	s_delay_alu instid0(VALU_DEP_1)
	v_readfirstlane_b32 s2, v1
	s_cmp_eq_u32 s2, 0
	s_cbranch_scc1 .LBB4_593
; %bb.592:                              ;   in Loop: Header=BB4_594 Depth=1
	s_sleep 1
	s_cbranch_execnz .LBB4_594
	s_branch .LBB4_596
.LBB4_593:
	s_branch .LBB4_596
.LBB4_594:                              ; =>This Inner Loop Header: Depth=1
	v_mov_b32_e32 v1, 1
	s_and_saveexec_b32 s2, s3
	s_cbranch_execz .LBB4_591
; %bb.595:                              ;   in Loop: Header=BB4_594 Depth=1
	global_load_b32 v1, v[10:11], off offset:20 scope:SCOPE_SYS
	s_wait_loadcnt 0x0
	global_inv scope:SCOPE_SYS
	v_and_b32_e32 v1, 1, v1
	s_branch .LBB4_591
.LBB4_596:
	global_load_b64 v[6:7], v[2:3], off
	s_wait_xcnt 0x0
	s_and_saveexec_b32 s8, s3
	s_cbranch_execz .LBB4_600
; %bb.597:
	v_mov_b32_e32 v1, 0
	s_clause 0x2
	global_load_b64 v[2:3], v1, s[4:5] offset:40
	global_load_b64 v[12:13], v1, s[4:5] offset:24 scope:SCOPE_SYS
	global_load_b64 v[8:9], v1, s[4:5]
	s_wait_loadcnt 0x2
	v_readfirstlane_b32 s10, v2
	v_readfirstlane_b32 s11, v3
	s_add_nc_u64 s[2:3], s[10:11], 1
	s_delay_alu instid0(SALU_CYCLE_1) | instskip(NEXT) | instid1(SALU_CYCLE_1)
	s_add_nc_u64 s[6:7], s[2:3], s[6:7]
	s_cmp_eq_u64 s[6:7], 0
	s_cselect_b32 s3, s3, s7
	s_cselect_b32 s2, s2, s6
	v_mov_b32_e32 v11, s3
	s_and_b64 s[6:7], s[2:3], s[10:11]
	v_mov_b32_e32 v10, s2
	s_mul_u64 s[6:7], s[6:7], 24
	s_wait_loadcnt 0x0
	v_add_nc_u64_e32 v[2:3], s[6:7], v[8:9]
	global_store_b64 v[2:3], v[12:13], off
	global_wb scope:SCOPE_SYS
	s_wait_storecnt 0x0
	s_wait_xcnt 0x0
	global_atomic_cmpswap_b64 v[10:11], v1, v[10:13], s[4:5] offset:24 th:TH_ATOMIC_RETURN scope:SCOPE_SYS
	s_wait_loadcnt 0x0
	v_cmp_ne_u64_e32 vcc_lo, v[10:11], v[12:13]
	s_and_b32 exec_lo, exec_lo, vcc_lo
	s_cbranch_execz .LBB4_600
; %bb.598:
	s_mov_b32 s6, 0
.LBB4_599:                              ; =>This Inner Loop Header: Depth=1
	v_dual_mov_b32 v8, s2 :: v_dual_mov_b32 v9, s3
	s_sleep 1
	global_store_b64 v[2:3], v[10:11], off
	global_wb scope:SCOPE_SYS
	s_wait_storecnt 0x0
	s_wait_xcnt 0x0
	global_atomic_cmpswap_b64 v[8:9], v1, v[8:11], s[4:5] offset:24 th:TH_ATOMIC_RETURN scope:SCOPE_SYS
	s_wait_loadcnt 0x0
	v_cmp_eq_u64_e32 vcc_lo, v[8:9], v[10:11]
	v_mov_b64_e32 v[10:11], v[8:9]
	s_or_b32 s6, vcc_lo, s6
	s_delay_alu instid0(SALU_CYCLE_1)
	s_and_not1_b32 exec_lo, exec_lo, s6
	s_cbranch_execnz .LBB4_599
.LBB4_600:
	s_or_b32 exec_lo, exec_lo, s8
	v_readfirstlane_b32 s2, v29
	v_mov_b64_e32 v[2:3], 0
	s_delay_alu instid0(VALU_DEP_2)
	v_cmp_eq_u32_e64 s2, s2, v29
	s_and_saveexec_b32 s3, s2
	s_cbranch_execz .LBB4_606
; %bb.601:
	v_mov_b32_e32 v1, 0
	s_mov_b32 s6, exec_lo
	global_load_b64 v[10:11], v1, s[4:5] offset:24 scope:SCOPE_SYS
	s_wait_loadcnt 0x0
	global_inv scope:SCOPE_SYS
	s_clause 0x1
	global_load_b64 v[2:3], v1, s[4:5] offset:40
	global_load_b64 v[8:9], v1, s[4:5]
	s_wait_loadcnt 0x1
	v_and_b32_e32 v2, v2, v10
	v_and_b32_e32 v3, v3, v11
	s_delay_alu instid0(VALU_DEP_1) | instskip(SKIP_1) | instid1(VALU_DEP_1)
	v_mul_u64_e32 v[2:3], 24, v[2:3]
	s_wait_loadcnt 0x0
	v_add_nc_u64_e32 v[2:3], v[8:9], v[2:3]
	global_load_b64 v[8:9], v[2:3], off scope:SCOPE_SYS
	s_wait_xcnt 0x0
	s_wait_loadcnt 0x0
	global_atomic_cmpswap_b64 v[2:3], v1, v[8:11], s[4:5] offset:24 th:TH_ATOMIC_RETURN scope:SCOPE_SYS
	s_wait_loadcnt 0x0
	global_inv scope:SCOPE_SYS
	s_wait_xcnt 0x0
	v_cmpx_ne_u64_e64 v[2:3], v[10:11]
	s_cbranch_execz .LBB4_605
; %bb.602:
	s_mov_b32 s7, 0
.LBB4_603:                              ; =>This Inner Loop Header: Depth=1
	s_sleep 1
	s_clause 0x1
	global_load_b64 v[8:9], v1, s[4:5] offset:40
	global_load_b64 v[12:13], v1, s[4:5]
	v_mov_b64_e32 v[10:11], v[2:3]
	s_wait_loadcnt 0x1
	s_delay_alu instid0(VALU_DEP_1) | instskip(NEXT) | instid1(VALU_DEP_2)
	v_and_b32_e32 v2, v8, v10
	v_and_b32_e32 v5, v9, v11
	s_wait_loadcnt 0x0
	s_delay_alu instid0(VALU_DEP_2) | instskip(NEXT) | instid1(VALU_DEP_1)
	v_mad_nc_u64_u32 v[2:3], v2, 24, v[12:13]
	v_mad_u32 v3, v5, 24, v3
	global_load_b64 v[8:9], v[2:3], off scope:SCOPE_SYS
	s_wait_xcnt 0x0
	s_wait_loadcnt 0x0
	global_atomic_cmpswap_b64 v[2:3], v1, v[8:11], s[4:5] offset:24 th:TH_ATOMIC_RETURN scope:SCOPE_SYS
	s_wait_loadcnt 0x0
	global_inv scope:SCOPE_SYS
	v_cmp_eq_u64_e32 vcc_lo, v[2:3], v[10:11]
	s_or_b32 s7, vcc_lo, s7
	s_wait_xcnt 0x0
	s_and_not1_b32 exec_lo, exec_lo, s7
	s_cbranch_execnz .LBB4_603
; %bb.604:
	s_or_b32 exec_lo, exec_lo, s7
.LBB4_605:
	s_delay_alu instid0(SALU_CYCLE_1)
	s_or_b32 exec_lo, exec_lo, s6
.LBB4_606:
	s_delay_alu instid0(SALU_CYCLE_1)
	s_or_b32 exec_lo, exec_lo, s3
	v_readfirstlane_b32 s6, v2
	v_mov_b32_e32 v1, 0
	v_readfirstlane_b32 s7, v3
	s_mov_b32 s3, exec_lo
	s_clause 0x1
	global_load_b64 v[8:9], v1, s[4:5] offset:40
	global_load_b128 v[10:13], v1, s[4:5]
	s_wait_loadcnt 0x1
	v_and_b32_e32 v8, s6, v8
	v_and_b32_e32 v9, s7, v9
	s_delay_alu instid0(VALU_DEP_1) | instskip(SKIP_1) | instid1(VALU_DEP_1)
	v_mul_u64_e32 v[2:3], 24, v[8:9]
	s_wait_loadcnt 0x0
	v_add_nc_u64_e32 v[2:3], v[10:11], v[2:3]
	s_wait_xcnt 0x0
	s_and_saveexec_b32 s8, s2
	s_cbranch_execz .LBB4_608
; %bb.607:
	v_mov_b64_e32 v[16:17], 0x100000002
	v_dual_mov_b32 v14, s3 :: v_dual_mov_b32 v15, v1
	global_store_b128 v[2:3], v[14:17], off offset:8
.LBB4_608:
	s_wait_xcnt 0x0
	s_or_b32 exec_lo, exec_lo, s8
	v_lshlrev_b64_e32 v[14:15], 12, v[8:9]
	s_mov_b32 s8, 0
	v_dual_mov_b32 v9, v1 :: v_dual_lshrrev_b32 v8, 3, v28
	s_mov_b32 s10, s8
	s_mov_b32 s11, s8
	;; [unrolled: 1-line block ×3, first 2 shown]
	s_delay_alu instid0(VALU_DEP_2) | instskip(SKIP_3) | instid1(VALU_DEP_4)
	v_add_nc_u64_e32 v[14:15], v[12:13], v[14:15]
	v_mov_b64_e32 v[18:19], s[10:11]
	v_mov_b64_e32 v[16:17], s[8:9]
	v_and_or_b32 v6, 0xffffff1f, v6, 32
	v_readfirstlane_b32 s12, v14
	v_readfirstlane_b32 s13, v15
	s_clause 0x3
	global_store_b128 v0, v[6:9], s[12:13]
	global_store_b128 v0, v[16:19], s[12:13] offset:16
	global_store_b128 v0, v[16:19], s[12:13] offset:32
	global_store_b128 v0, v[16:19], s[12:13] offset:48
	s_wait_xcnt 0x0
	s_and_saveexec_b32 s3, s2
	s_cbranch_execz .LBB4_616
; %bb.609:
	v_dual_mov_b32 v5, 0 :: v_dual_mov_b32 v17, s7
	s_mov_b32 s8, exec_lo
	s_clause 0x1
	global_load_b64 v[18:19], v5, s[4:5] offset:32 scope:SCOPE_SYS
	global_load_b64 v[6:7], v5, s[4:5] offset:40
	s_wait_loadcnt 0x0
	v_dual_mov_b32 v16, s6 :: v_dual_bitop2_b32 v7, s7, v7 bitop3:0x40
	v_and_b32_e32 v6, s6, v6
	s_delay_alu instid0(VALU_DEP_1) | instskip(NEXT) | instid1(VALU_DEP_1)
	v_mul_u64_e32 v[6:7], 24, v[6:7]
	v_add_nc_u64_e32 v[6:7], v[10:11], v[6:7]
	global_store_b64 v[6:7], v[18:19], off
	global_wb scope:SCOPE_SYS
	s_wait_storecnt 0x0
	s_wait_xcnt 0x0
	global_atomic_cmpswap_b64 v[12:13], v5, v[16:19], s[4:5] offset:32 th:TH_ATOMIC_RETURN scope:SCOPE_SYS
	s_wait_loadcnt 0x0
	v_cmpx_ne_u64_e64 v[12:13], v[18:19]
	s_cbranch_execz .LBB4_612
; %bb.610:
	s_mov_b32 s9, 0
.LBB4_611:                              ; =>This Inner Loop Header: Depth=1
	v_dual_mov_b32 v10, s6 :: v_dual_mov_b32 v11, s7
	s_sleep 1
	global_store_b64 v[6:7], v[12:13], off
	global_wb scope:SCOPE_SYS
	s_wait_storecnt 0x0
	s_wait_xcnt 0x0
	global_atomic_cmpswap_b64 v[10:11], v5, v[10:13], s[4:5] offset:32 th:TH_ATOMIC_RETURN scope:SCOPE_SYS
	s_wait_loadcnt 0x0
	v_cmp_eq_u64_e32 vcc_lo, v[10:11], v[12:13]
	v_mov_b64_e32 v[12:13], v[10:11]
	s_or_b32 s9, vcc_lo, s9
	s_delay_alu instid0(SALU_CYCLE_1)
	s_and_not1_b32 exec_lo, exec_lo, s9
	s_cbranch_execnz .LBB4_611
.LBB4_612:
	s_or_b32 exec_lo, exec_lo, s8
	v_mov_b32_e32 v11, 0
	s_mov_b32 s9, exec_lo
	s_mov_b32 s8, exec_lo
	v_mbcnt_lo_u32_b32 v5, s9, 0
	global_load_b64 v[6:7], v11, s[4:5] offset:16
	s_wait_xcnt 0x0
	v_cmpx_eq_u32_e32 0, v5
	s_cbranch_execz .LBB4_614
; %bb.613:
	s_bcnt1_i32_b32 s9, s9
	s_delay_alu instid0(SALU_CYCLE_1)
	v_mov_b32_e32 v10, s9
	global_wb scope:SCOPE_SYS
	s_wait_loadcnt 0x0
	s_wait_storecnt 0x0
	global_atomic_add_u64 v[6:7], v[10:11], off offset:8 scope:SCOPE_SYS
.LBB4_614:
	s_wait_xcnt 0x0
	s_or_b32 exec_lo, exec_lo, s8
	s_wait_loadcnt 0x0
	global_load_b64 v[10:11], v[6:7], off offset:16
	s_wait_loadcnt 0x0
	v_cmp_eq_u64_e32 vcc_lo, 0, v[10:11]
	s_cbranch_vccnz .LBB4_616
; %bb.615:
	global_load_b32 v6, v[6:7], off offset:24
	s_wait_xcnt 0x0
	v_mov_b32_e32 v7, 0
	s_wait_loadcnt 0x0
	v_readfirstlane_b32 s8, v6
	global_wb scope:SCOPE_SYS
	s_wait_storecnt 0x0
	global_store_b64 v[10:11], v[6:7], off scope:SCOPE_SYS
	s_and_b32 m0, s8, 0xffffff
	s_sendmsg sendmsg(MSG_INTERRUPT)
.LBB4_616:
	s_wait_xcnt 0x0
	s_or_b32 exec_lo, exec_lo, s3
	v_add_nc_u64_e32 v[6:7], v[14:15], v[0:1]
	s_branch .LBB4_620
.LBB4_617:                              ;   in Loop: Header=BB4_620 Depth=1
	s_wait_xcnt 0x0
	s_or_b32 exec_lo, exec_lo, s3
	s_delay_alu instid0(VALU_DEP_1)
	v_readfirstlane_b32 s3, v1
	s_cmp_eq_u32 s3, 0
	s_cbranch_scc1 .LBB4_619
; %bb.618:                              ;   in Loop: Header=BB4_620 Depth=1
	s_sleep 1
	s_cbranch_execnz .LBB4_620
	s_branch .LBB4_622
.LBB4_619:
	s_branch .LBB4_622
.LBB4_620:                              ; =>This Inner Loop Header: Depth=1
	v_mov_b32_e32 v1, 1
	s_and_saveexec_b32 s3, s2
	s_cbranch_execz .LBB4_617
; %bb.621:                              ;   in Loop: Header=BB4_620 Depth=1
	global_load_b32 v1, v[2:3], off offset:20 scope:SCOPE_SYS
	s_wait_loadcnt 0x0
	global_inv scope:SCOPE_SYS
	v_and_b32_e32 v1, 1, v1
	s_branch .LBB4_617
.LBB4_622:
	global_load_b64 v[10:11], v[6:7], off
	s_wait_xcnt 0x0
	s_and_saveexec_b32 s8, s2
	s_cbranch_execz .LBB4_626
; %bb.623:
	v_mov_b32_e32 v1, 0
	s_clause 0x2
	global_load_b64 v[2:3], v1, s[4:5] offset:40
	global_load_b64 v[16:17], v1, s[4:5] offset:24 scope:SCOPE_SYS
	global_load_b64 v[6:7], v1, s[4:5]
	s_wait_loadcnt 0x2
	v_readfirstlane_b32 s10, v2
	v_readfirstlane_b32 s11, v3
	s_add_nc_u64 s[2:3], s[10:11], 1
	s_delay_alu instid0(SALU_CYCLE_1) | instskip(NEXT) | instid1(SALU_CYCLE_1)
	s_add_nc_u64 s[6:7], s[2:3], s[6:7]
	s_cmp_eq_u64 s[6:7], 0
	s_cselect_b32 s3, s3, s7
	s_cselect_b32 s2, s2, s6
	v_mov_b32_e32 v15, s3
	s_and_b64 s[6:7], s[2:3], s[10:11]
	v_mov_b32_e32 v14, s2
	s_mul_u64 s[6:7], s[6:7], 24
	s_wait_loadcnt 0x0
	v_add_nc_u64_e32 v[2:3], s[6:7], v[6:7]
	global_store_b64 v[2:3], v[16:17], off
	global_wb scope:SCOPE_SYS
	s_wait_storecnt 0x0
	s_wait_xcnt 0x0
	global_atomic_cmpswap_b64 v[14:15], v1, v[14:17], s[4:5] offset:24 th:TH_ATOMIC_RETURN scope:SCOPE_SYS
	s_wait_loadcnt 0x0
	v_cmp_ne_u64_e32 vcc_lo, v[14:15], v[16:17]
	s_and_b32 exec_lo, exec_lo, vcc_lo
	s_cbranch_execz .LBB4_626
; %bb.624:
	s_mov_b32 s6, 0
.LBB4_625:                              ; =>This Inner Loop Header: Depth=1
	v_dual_mov_b32 v12, s2 :: v_dual_mov_b32 v13, s3
	s_sleep 1
	global_store_b64 v[2:3], v[14:15], off
	global_wb scope:SCOPE_SYS
	s_wait_storecnt 0x0
	s_wait_xcnt 0x0
	global_atomic_cmpswap_b64 v[6:7], v1, v[12:15], s[4:5] offset:24 th:TH_ATOMIC_RETURN scope:SCOPE_SYS
	s_wait_loadcnt 0x0
	v_cmp_eq_u64_e32 vcc_lo, v[6:7], v[14:15]
	v_mov_b64_e32 v[14:15], v[6:7]
	s_or_b32 s6, vcc_lo, s6
	s_delay_alu instid0(SALU_CYCLE_1)
	s_and_not1_b32 exec_lo, exec_lo, s6
	s_cbranch_execnz .LBB4_625
.LBB4_626:
	s_or_b32 exec_lo, exec_lo, s8
	v_readfirstlane_b32 s2, v29
	v_mov_b64_e32 v[2:3], 0
	s_delay_alu instid0(VALU_DEP_2)
	v_cmp_eq_u32_e64 s2, s2, v29
	s_and_saveexec_b32 s3, s2
	s_cbranch_execz .LBB4_632
; %bb.627:
	v_mov_b32_e32 v1, 0
	s_mov_b32 s6, exec_lo
	global_load_b64 v[14:15], v1, s[4:5] offset:24 scope:SCOPE_SYS
	s_wait_loadcnt 0x0
	global_inv scope:SCOPE_SYS
	s_clause 0x1
	global_load_b64 v[2:3], v1, s[4:5] offset:40
	global_load_b64 v[6:7], v1, s[4:5]
	s_wait_loadcnt 0x1
	v_and_b32_e32 v2, v2, v14
	v_and_b32_e32 v3, v3, v15
	s_delay_alu instid0(VALU_DEP_1) | instskip(SKIP_1) | instid1(VALU_DEP_1)
	v_mul_u64_e32 v[2:3], 24, v[2:3]
	s_wait_loadcnt 0x0
	v_add_nc_u64_e32 v[2:3], v[6:7], v[2:3]
	global_load_b64 v[12:13], v[2:3], off scope:SCOPE_SYS
	s_wait_xcnt 0x0
	s_wait_loadcnt 0x0
	global_atomic_cmpswap_b64 v[2:3], v1, v[12:15], s[4:5] offset:24 th:TH_ATOMIC_RETURN scope:SCOPE_SYS
	s_wait_loadcnt 0x0
	global_inv scope:SCOPE_SYS
	s_wait_xcnt 0x0
	v_cmpx_ne_u64_e64 v[2:3], v[14:15]
	s_cbranch_execz .LBB4_631
; %bb.628:
	s_mov_b32 s7, 0
.LBB4_629:                              ; =>This Inner Loop Header: Depth=1
	s_sleep 1
	s_clause 0x1
	global_load_b64 v[6:7], v1, s[4:5] offset:40
	global_load_b64 v[12:13], v1, s[4:5]
	v_mov_b64_e32 v[14:15], v[2:3]
	s_wait_loadcnt 0x1
	s_delay_alu instid0(VALU_DEP_1) | instskip(NEXT) | instid1(VALU_DEP_2)
	v_and_b32_e32 v2, v6, v14
	v_and_b32_e32 v5, v7, v15
	s_wait_loadcnt 0x0
	s_delay_alu instid0(VALU_DEP_2) | instskip(NEXT) | instid1(VALU_DEP_1)
	v_mad_nc_u64_u32 v[2:3], v2, 24, v[12:13]
	v_mad_u32 v3, v5, 24, v3
	global_load_b64 v[12:13], v[2:3], off scope:SCOPE_SYS
	s_wait_xcnt 0x0
	s_wait_loadcnt 0x0
	global_atomic_cmpswap_b64 v[2:3], v1, v[12:15], s[4:5] offset:24 th:TH_ATOMIC_RETURN scope:SCOPE_SYS
	s_wait_loadcnt 0x0
	global_inv scope:SCOPE_SYS
	v_cmp_eq_u64_e32 vcc_lo, v[2:3], v[14:15]
	s_or_b32 s7, vcc_lo, s7
	s_wait_xcnt 0x0
	s_and_not1_b32 exec_lo, exec_lo, s7
	s_cbranch_execnz .LBB4_629
; %bb.630:
	s_or_b32 exec_lo, exec_lo, s7
.LBB4_631:
	s_delay_alu instid0(SALU_CYCLE_1)
	s_or_b32 exec_lo, exec_lo, s6
.LBB4_632:
	s_delay_alu instid0(SALU_CYCLE_1)
	s_or_b32 exec_lo, exec_lo, s3
	v_readfirstlane_b32 s6, v2
	v_mov_b32_e32 v13, 0
	v_readfirstlane_b32 s7, v3
	s_mov_b32 s3, exec_lo
	s_clause 0x1
	global_load_b64 v[6:7], v13, s[4:5] offset:40
	global_load_b128 v[14:17], v13, s[4:5]
	s_wait_loadcnt 0x1
	v_and_b32_e32 v2, s6, v6
	v_and_b32_e32 v3, s7, v7
	s_delay_alu instid0(VALU_DEP_1) | instskip(SKIP_1) | instid1(VALU_DEP_1)
	v_mul_u64_e32 v[6:7], 24, v[2:3]
	s_wait_loadcnt 0x0
	v_add_nc_u64_e32 v[6:7], v[14:15], v[6:7]
	s_wait_xcnt 0x0
	s_and_saveexec_b32 s8, s2
	s_cbranch_execz .LBB4_634
; %bb.633:
	v_mov_b32_e32 v12, s3
	v_mov_b64_e32 v[20:21], 0x100000002
	s_delay_alu instid0(VALU_DEP_2)
	v_mov_b64_e32 v[18:19], v[12:13]
	global_store_b128 v[6:7], v[18:21], off offset:8
.LBB4_634:
	s_wait_xcnt 0x0
	s_or_b32 exec_lo, exec_lo, s8
	v_lshlrev_b64_e32 v[2:3], 12, v[2:3]
	s_mov_b32 s8, 0
	s_add_co_i32 s22, s22, 7
	s_mov_b32 s10, s8
	s_mov_b32 s11, s8
	;; [unrolled: 1-line block ×3, first 2 shown]
	s_lshr_b32 s3, s22, 3
	v_add_nc_u64_e32 v[2:3], v[16:17], v[2:3]
	v_mov_b64_e32 v[18:19], s[10:11]
	v_mov_b64_e32 v[16:17], s[8:9]
	v_and_or_b32 v10, 0xffffff1d, v10, 34
	v_mov_b32_e32 v12, s3
	v_readfirstlane_b32 s12, v2
	v_readfirstlane_b32 s13, v3
	s_clause 0x3
	global_store_b128 v0, v[10:13], s[12:13]
	global_store_b128 v0, v[16:19], s[12:13] offset:16
	global_store_b128 v0, v[16:19], s[12:13] offset:32
	;; [unrolled: 1-line block ×3, first 2 shown]
	s_wait_xcnt 0x0
	s_and_saveexec_b32 s3, s2
	s_cbranch_execz .LBB4_642
; %bb.635:
	v_mov_b32_e32 v5, 0
	s_mov_b32 s8, exec_lo
	s_clause 0x1
	global_load_b64 v[16:17], v5, s[4:5] offset:32 scope:SCOPE_SYS
	global_load_b64 v[0:1], v5, s[4:5] offset:40
	s_wait_loadcnt 0x0
	v_and_b32_e32 v0, s6, v0
	v_and_b32_e32 v1, s7, v1
	s_delay_alu instid0(VALU_DEP_1) | instskip(NEXT) | instid1(VALU_DEP_1)
	v_mul_u64_e32 v[0:1], 24, v[0:1]
	v_add_nc_u64_e32 v[10:11], v[14:15], v[0:1]
	v_dual_mov_b32 v14, s6 :: v_dual_mov_b32 v15, s7
	global_store_b64 v[10:11], v[16:17], off
	global_wb scope:SCOPE_SYS
	s_wait_storecnt 0x0
	s_wait_xcnt 0x0
	global_atomic_cmpswap_b64 v[2:3], v5, v[14:17], s[4:5] offset:32 th:TH_ATOMIC_RETURN scope:SCOPE_SYS
	s_wait_loadcnt 0x0
	v_cmpx_ne_u64_e64 v[2:3], v[16:17]
	s_cbranch_execz .LBB4_638
; %bb.636:
	s_mov_b32 s9, 0
.LBB4_637:                              ; =>This Inner Loop Header: Depth=1
	v_dual_mov_b32 v0, s6 :: v_dual_mov_b32 v1, s7
	s_sleep 1
	global_store_b64 v[10:11], v[2:3], off
	global_wb scope:SCOPE_SYS
	s_wait_storecnt 0x0
	s_wait_xcnt 0x0
	global_atomic_cmpswap_b64 v[0:1], v5, v[0:3], s[4:5] offset:32 th:TH_ATOMIC_RETURN scope:SCOPE_SYS
	s_wait_loadcnt 0x0
	v_cmp_eq_u64_e32 vcc_lo, v[0:1], v[2:3]
	v_mov_b64_e32 v[2:3], v[0:1]
	s_or_b32 s9, vcc_lo, s9
	s_delay_alu instid0(SALU_CYCLE_1)
	s_and_not1_b32 exec_lo, exec_lo, s9
	s_cbranch_execnz .LBB4_637
.LBB4_638:
	s_or_b32 exec_lo, exec_lo, s8
	v_mov_b32_e32 v3, 0
	s_mov_b32 s9, exec_lo
	s_mov_b32 s8, exec_lo
	v_mbcnt_lo_u32_b32 v2, s9, 0
	global_load_b64 v[0:1], v3, s[4:5] offset:16
	s_wait_xcnt 0x0
	v_cmpx_eq_u32_e32 0, v2
	s_cbranch_execz .LBB4_640
; %bb.639:
	s_bcnt1_i32_b32 s9, s9
	s_delay_alu instid0(SALU_CYCLE_1)
	v_mov_b32_e32 v2, s9
	global_wb scope:SCOPE_SYS
	s_wait_loadcnt 0x0
	s_wait_storecnt 0x0
	global_atomic_add_u64 v[0:1], v[2:3], off offset:8 scope:SCOPE_SYS
.LBB4_640:
	s_wait_xcnt 0x0
	s_or_b32 exec_lo, exec_lo, s8
	s_wait_loadcnt 0x0
	global_load_b64 v[2:3], v[0:1], off offset:16
	s_wait_loadcnt 0x0
	v_cmp_eq_u64_e32 vcc_lo, 0, v[2:3]
	s_cbranch_vccnz .LBB4_642
; %bb.641:
	global_load_b32 v0, v[0:1], off offset:24
	s_wait_xcnt 0x0
	v_mov_b32_e32 v1, 0
	s_wait_loadcnt 0x0
	v_readfirstlane_b32 s8, v0
	global_wb scope:SCOPE_SYS
	s_wait_storecnt 0x0
	global_store_b64 v[2:3], v[0:1], off scope:SCOPE_SYS
	s_and_b32 m0, s8, 0xffffff
	s_sendmsg sendmsg(MSG_INTERRUPT)
.LBB4_642:
	s_wait_xcnt 0x0
	s_or_b32 exec_lo, exec_lo, s3
	s_branch .LBB4_646
.LBB4_643:                              ;   in Loop: Header=BB4_646 Depth=1
	s_wait_xcnt 0x0
	s_or_b32 exec_lo, exec_lo, s3
	s_delay_alu instid0(VALU_DEP_1)
	v_readfirstlane_b32 s3, v0
	s_cmp_eq_u32 s3, 0
	s_cbranch_scc1 .LBB4_645
; %bb.644:                              ;   in Loop: Header=BB4_646 Depth=1
	s_sleep 1
	s_cbranch_execnz .LBB4_646
	s_branch .LBB4_648
.LBB4_645:
	s_branch .LBB4_648
.LBB4_646:                              ; =>This Inner Loop Header: Depth=1
	v_mov_b32_e32 v0, 1
	s_and_saveexec_b32 s3, s2
	s_cbranch_execz .LBB4_643
; %bb.647:                              ;   in Loop: Header=BB4_646 Depth=1
	global_load_b32 v0, v[6:7], off offset:20 scope:SCOPE_SYS
	s_wait_loadcnt 0x0
	global_inv scope:SCOPE_SYS
	v_and_b32_e32 v0, 1, v0
	s_branch .LBB4_643
.LBB4_648:
	s_and_saveexec_b32 s8, s2
	s_cbranch_execz .LBB4_652
; %bb.649:
	v_mov_b32_e32 v5, 0
	s_clause 0x2
	global_load_b64 v[0:1], v5, s[4:5] offset:40
	global_load_b64 v[12:13], v5, s[4:5] offset:24 scope:SCOPE_SYS
	global_load_b64 v[2:3], v5, s[4:5]
	s_wait_loadcnt 0x2
	v_readfirstlane_b32 s10, v0
	v_readfirstlane_b32 s11, v1
	s_add_nc_u64 s[2:3], s[10:11], 1
	s_delay_alu instid0(SALU_CYCLE_1) | instskip(NEXT) | instid1(SALU_CYCLE_1)
	s_add_nc_u64 s[6:7], s[2:3], s[6:7]
	s_cmp_eq_u64 s[6:7], 0
	s_cselect_b32 s3, s3, s7
	s_cselect_b32 s2, s2, s6
	v_mov_b32_e32 v11, s3
	s_and_b64 s[6:7], s[2:3], s[10:11]
	v_mov_b32_e32 v10, s2
	s_mul_u64 s[6:7], s[6:7], 24
	s_wait_loadcnt 0x0
	v_add_nc_u64_e32 v[6:7], s[6:7], v[2:3]
	global_store_b64 v[6:7], v[12:13], off
	global_wb scope:SCOPE_SYS
	s_wait_storecnt 0x0
	s_wait_xcnt 0x0
	global_atomic_cmpswap_b64 v[2:3], v5, v[10:13], s[4:5] offset:24 th:TH_ATOMIC_RETURN scope:SCOPE_SYS
	s_wait_loadcnt 0x0
	v_cmp_ne_u64_e32 vcc_lo, v[2:3], v[12:13]
	s_and_b32 exec_lo, exec_lo, vcc_lo
	s_cbranch_execz .LBB4_652
; %bb.650:
	s_mov_b32 s6, 0
.LBB4_651:                              ; =>This Inner Loop Header: Depth=1
	v_dual_mov_b32 v0, s2 :: v_dual_mov_b32 v1, s3
	s_sleep 1
	global_store_b64 v[6:7], v[2:3], off
	global_wb scope:SCOPE_SYS
	s_wait_storecnt 0x0
	s_wait_xcnt 0x0
	global_atomic_cmpswap_b64 v[0:1], v5, v[0:3], s[4:5] offset:24 th:TH_ATOMIC_RETURN scope:SCOPE_SYS
	s_wait_loadcnt 0x0
	v_cmp_eq_u64_e32 vcc_lo, v[0:1], v[2:3]
	v_mov_b64_e32 v[2:3], v[0:1]
	s_or_b32 s6, vcc_lo, s6
	s_delay_alu instid0(SALU_CYCLE_1)
	s_and_not1_b32 exec_lo, exec_lo, s6
	s_cbranch_execnz .LBB4_651
.LBB4_652:
	s_or_b32 exec_lo, exec_lo, s8
	s_load_b64 s[0:1], s[0:1], 0x0
	s_wait_kmcnt 0x0
	global_store_b32 v8, v4, s[0:1] scale_offset
	s_endpgm
	.section	.rodata,"a",@progbits
	.p2align	6, 0x0
	.amdhsa_kernel _Z32kernel_cg_group_partition_staticILj8EEvPibS0_
		.amdhsa_group_segment_fixed_size 0
		.amdhsa_private_segment_fixed_size 0
		.amdhsa_kernarg_size 280
		.amdhsa_user_sgpr_count 2
		.amdhsa_user_sgpr_dispatch_ptr 0
		.amdhsa_user_sgpr_queue_ptr 0
		.amdhsa_user_sgpr_kernarg_segment_ptr 1
		.amdhsa_user_sgpr_dispatch_id 0
		.amdhsa_user_sgpr_kernarg_preload_length 0
		.amdhsa_user_sgpr_kernarg_preload_offset 0
		.amdhsa_user_sgpr_private_segment_size 0
		.amdhsa_wavefront_size32 1
		.amdhsa_uses_dynamic_stack 0
		.amdhsa_enable_private_segment 0
		.amdhsa_system_sgpr_workgroup_id_x 1
		.amdhsa_system_sgpr_workgroup_id_y 0
		.amdhsa_system_sgpr_workgroup_id_z 0
		.amdhsa_system_sgpr_workgroup_info 0
		.amdhsa_system_vgpr_workitem_id 2
		.amdhsa_next_free_vgpr 36
		.amdhsa_next_free_sgpr 28
		.amdhsa_named_barrier_count 0
		.amdhsa_reserve_vcc 1
		.amdhsa_float_round_mode_32 0
		.amdhsa_float_round_mode_16_64 0
		.amdhsa_float_denorm_mode_32 3
		.amdhsa_float_denorm_mode_16_64 3
		.amdhsa_fp16_overflow 0
		.amdhsa_memory_ordered 1
		.amdhsa_forward_progress 1
		.amdhsa_inst_pref_size 232
		.amdhsa_round_robin_scheduling 0
		.amdhsa_exception_fp_ieee_invalid_op 0
		.amdhsa_exception_fp_denorm_src 0
		.amdhsa_exception_fp_ieee_div_zero 0
		.amdhsa_exception_fp_ieee_overflow 0
		.amdhsa_exception_fp_ieee_underflow 0
		.amdhsa_exception_fp_ieee_inexact 0
		.amdhsa_exception_int_div_zero 0
	.end_amdhsa_kernel
	.section	.text._Z32kernel_cg_group_partition_staticILj8EEvPibS0_,"axG",@progbits,_Z32kernel_cg_group_partition_staticILj8EEvPibS0_,comdat
.Lfunc_end4:
	.size	_Z32kernel_cg_group_partition_staticILj8EEvPibS0_, .Lfunc_end4-_Z32kernel_cg_group_partition_staticILj8EEvPibS0_
                                        ; -- End function
	.set _Z32kernel_cg_group_partition_staticILj8EEvPibS0_.num_vgpr, 36
	.set _Z32kernel_cg_group_partition_staticILj8EEvPibS0_.num_agpr, 0
	.set _Z32kernel_cg_group_partition_staticILj8EEvPibS0_.numbered_sgpr, 28
	.set _Z32kernel_cg_group_partition_staticILj8EEvPibS0_.num_named_barrier, 0
	.set _Z32kernel_cg_group_partition_staticILj8EEvPibS0_.private_seg_size, 0
	.set _Z32kernel_cg_group_partition_staticILj8EEvPibS0_.uses_vcc, 1
	.set _Z32kernel_cg_group_partition_staticILj8EEvPibS0_.uses_flat_scratch, 0
	.set _Z32kernel_cg_group_partition_staticILj8EEvPibS0_.has_dyn_sized_stack, 0
	.set _Z32kernel_cg_group_partition_staticILj8EEvPibS0_.has_recursion, 0
	.set _Z32kernel_cg_group_partition_staticILj8EEvPibS0_.has_indirect_call, 0
	.section	.AMDGPU.csdata,"",@progbits
; Kernel info:
; codeLenInByte = 29592
; TotalNumSgprs: 30
; NumVgprs: 36
; ScratchSize: 0
; MemoryBound: 0
; FloatMode: 240
; IeeeMode: 1
; LDSByteSize: 0 bytes/workgroup (compile time only)
; SGPRBlocks: 0
; VGPRBlocks: 2
; NumSGPRsForWavesPerEU: 30
; NumVGPRsForWavesPerEU: 36
; NamedBarCnt: 0
; Occupancy: 16
; WaveLimiterHint : 1
; COMPUTE_PGM_RSRC2:SCRATCH_EN: 0
; COMPUTE_PGM_RSRC2:USER_SGPR: 2
; COMPUTE_PGM_RSRC2:TRAP_HANDLER: 0
; COMPUTE_PGM_RSRC2:TGID_X_EN: 1
; COMPUTE_PGM_RSRC2:TGID_Y_EN: 0
; COMPUTE_PGM_RSRC2:TGID_Z_EN: 0
; COMPUTE_PGM_RSRC2:TIDIG_COMP_CNT: 2
	.section	.text._Z32kernel_cg_group_partition_staticILj16EEvPibS0_,"axG",@progbits,_Z32kernel_cg_group_partition_staticILj16EEvPibS0_,comdat
	.protected	_Z32kernel_cg_group_partition_staticILj16EEvPibS0_ ; -- Begin function _Z32kernel_cg_group_partition_staticILj16EEvPibS0_
	.globl	_Z32kernel_cg_group_partition_staticILj16EEvPibS0_
	.p2align	8
	.type	_Z32kernel_cg_group_partition_staticILj16EEvPibS0_,@function
_Z32kernel_cg_group_partition_staticILj16EEvPibS0_: ; @_Z32kernel_cg_group_partition_staticILj16EEvPibS0_
; %bb.0:
	s_mov_b64 s[2:3], src_shared_base
	s_clause 0x1
	s_load_b64 s[4:5], s[0:1], 0x24
	s_load_b32 s2, s[0:1], 0x8
	v_bfe_u32 v1, v0, 10, 10
	v_bfe_u32 v2, v0, 20, 10
	s_load_b64 s[6:7], s[0:1], 0x10
	v_and_b32_e32 v0, 0x3ff, v0
	s_wait_kmcnt 0x0
	s_lshr_b32 s8, s4, 16
	s_and_b32 s4, s4, 0xffff
	v_mad_u32_u24 v1, v2, s8, v1
	s_and_b32 s2, 1, s2
	s_and_b32 s5, s5, 0xffff
	s_cmp_lg_u32 0, -1
	s_mul_i32 s22, s8, s4
	v_mad_u32 v28, v1, s4, v0
	s_cselect_b32 s9, 0, 0
	s_cselect_b32 s3, s3, 0
	s_cmp_eq_u32 s2, 1
	s_mul_i32 s22, s22, s5
	s_cselect_b32 s7, s7, s3
	s_cselect_b32 s6, s6, s9
	s_cmp_lt_u32 s22, 2
	s_mov_b32 s3, 0
	s_delay_alu instid0(VALU_DEP_1)
	v_mov_b32_e32 v31, v28
	s_cbranch_scc1 .LBB5_6
; %bb.1:
	v_dual_ashrrev_i32 v29, 31, v28 :: v_dual_mov_b32 v31, v28
	s_mov_b32 s4, s22
	s_delay_alu instid0(VALU_DEP_1)
	v_lshl_add_u64 v[0:1], v[28:29], 2, s[6:7]
.LBB5_2:                                ; =>This Inner Loop Header: Depth=1
	s_lshr_b32 s2, s4, 1
	s_mov_b32 s5, exec_lo
	flat_store_b32 v[0:1], v31
	s_wait_storecnt_dscnt 0x0
	s_barrier_signal -1
	s_barrier_wait -1
	s_wait_xcnt 0x0
	v_cmpx_gt_i32_e64 s2, v28
	s_cbranch_execz .LBB5_4
; %bb.3:                                ;   in Loop: Header=BB5_2 Depth=1
	v_lshl_add_u64 v[2:3], s[2:3], 2, v[0:1]
	flat_load_b32 v2, v[2:3]
	s_wait_loadcnt_dscnt 0x0
	v_add_nc_u32_e32 v31, v2, v31
.LBB5_4:                                ;   in Loop: Header=BB5_2 Depth=1
	s_or_b32 exec_lo, exec_lo, s5
	s_cmp_gt_u32 s4, 3
	s_barrier_signal -1
	s_barrier_wait -1
	s_cbranch_scc0 .LBB5_6
; %bb.5:                                ;   in Loop: Header=BB5_2 Depth=1
	s_mov_b32 s4, s2
	s_branch .LBB5_2
.LBB5_6:
	v_cmp_eq_u32_e64 s2, 0, v28
	s_add_nc_u64 s[4:5], s[0:1], 24
	s_and_saveexec_b32 s23, s2
	s_cbranch_execz .LBB5_403
; %bb.7:
	s_load_b64 s[8:9], s[4:5], 0x50
	v_mbcnt_lo_u32_b32 v29, -1, 0
	v_mov_b64_e32 v[2:3], 0
	s_delay_alu instid0(VALU_DEP_2) | instskip(NEXT) | instid1(VALU_DEP_1)
	v_readfirstlane_b32 s3, v29
	v_cmp_eq_u32_e64 s3, s3, v29
	s_and_saveexec_b32 s10, s3
	s_cbranch_execz .LBB5_13
; %bb.8:
	v_mov_b32_e32 v0, 0
	s_mov_b32 s11, exec_lo
	s_wait_kmcnt 0x0
	global_load_b64 v[4:5], v0, s[8:9] offset:24 scope:SCOPE_SYS
	s_wait_loadcnt 0x0
	global_inv scope:SCOPE_SYS
	s_clause 0x1
	global_load_b64 v[2:3], v0, s[8:9] offset:40
	global_load_b64 v[6:7], v0, s[8:9]
	s_wait_loadcnt 0x1
	v_and_b32_e32 v2, v2, v4
	v_and_b32_e32 v3, v3, v5
	s_delay_alu instid0(VALU_DEP_1) | instskip(SKIP_1) | instid1(VALU_DEP_1)
	v_mul_u64_e32 v[2:3], 24, v[2:3]
	s_wait_loadcnt 0x0
	v_add_nc_u64_e32 v[2:3], v[6:7], v[2:3]
	global_load_b64 v[2:3], v[2:3], off scope:SCOPE_SYS
	s_wait_xcnt 0x0
	s_wait_loadcnt 0x0
	global_atomic_cmpswap_b64 v[2:3], v0, v[2:5], s[8:9] offset:24 th:TH_ATOMIC_RETURN scope:SCOPE_SYS
	s_wait_loadcnt 0x0
	global_inv scope:SCOPE_SYS
	s_wait_xcnt 0x0
	v_cmpx_ne_u64_e64 v[2:3], v[4:5]
	s_cbranch_execz .LBB5_12
; %bb.9:
	s_mov_b32 s12, 0
.LBB5_10:                               ; =>This Inner Loop Header: Depth=1
	s_sleep 1
	s_clause 0x1
	global_load_b64 v[6:7], v0, s[8:9] offset:40
	global_load_b64 v[8:9], v0, s[8:9]
	v_mov_b64_e32 v[4:5], v[2:3]
	s_wait_loadcnt 0x1
	s_delay_alu instid0(VALU_DEP_1) | instskip(SKIP_1) | instid1(VALU_DEP_1)
	v_and_b32_e32 v1, v6, v4
	s_wait_loadcnt 0x0
	v_mad_nc_u64_u32 v[2:3], v1, 24, v[8:9]
	s_delay_alu instid0(VALU_DEP_3) | instskip(NEXT) | instid1(VALU_DEP_1)
	v_and_b32_e32 v1, v7, v5
	v_mad_u32 v3, v1, 24, v3
	global_load_b64 v[2:3], v[2:3], off scope:SCOPE_SYS
	s_wait_xcnt 0x0
	s_wait_loadcnt 0x0
	global_atomic_cmpswap_b64 v[2:3], v0, v[2:5], s[8:9] offset:24 th:TH_ATOMIC_RETURN scope:SCOPE_SYS
	s_wait_loadcnt 0x0
	global_inv scope:SCOPE_SYS
	v_cmp_eq_u64_e32 vcc_lo, v[2:3], v[4:5]
	s_or_b32 s12, vcc_lo, s12
	s_wait_xcnt 0x0
	s_and_not1_b32 exec_lo, exec_lo, s12
	s_cbranch_execnz .LBB5_10
; %bb.11:
	s_or_b32 exec_lo, exec_lo, s12
.LBB5_12:
	s_delay_alu instid0(SALU_CYCLE_1)
	s_or_b32 exec_lo, exec_lo, s11
.LBB5_13:
	s_delay_alu instid0(SALU_CYCLE_1)
	s_or_b32 exec_lo, exec_lo, s10
	v_readfirstlane_b32 s10, v2
	v_mov_b32_e32 v1, 0
	v_readfirstlane_b32 s11, v3
	s_mov_b32 s12, exec_lo
	s_wait_kmcnt 0x0
	s_clause 0x1
	global_load_b64 v[8:9], v1, s[8:9] offset:40
	global_load_b128 v[4:7], v1, s[8:9]
	s_wait_loadcnt 0x1
	v_and_b32_e32 v10, s10, v8
	v_and_b32_e32 v11, s11, v9
	s_delay_alu instid0(VALU_DEP_1) | instskip(SKIP_1) | instid1(VALU_DEP_1)
	v_mul_u64_e32 v[2:3], 24, v[10:11]
	s_wait_loadcnt 0x0
	v_add_nc_u64_e32 v[8:9], v[4:5], v[2:3]
	s_and_saveexec_b32 s13, s3
	s_cbranch_execz .LBB5_15
; %bb.14:
	v_mov_b64_e32 v[2:3], 0x100000002
	v_mov_b32_e32 v0, s12
	global_store_b128 v[8:9], v[0:3], off offset:8
.LBB5_15:
	s_wait_xcnt 0x0
	s_or_b32 exec_lo, exec_lo, s13
	v_lshlrev_b64_e32 v[2:3], 12, v[10:11]
	s_mov_b32 s12, 0
	v_dual_lshlrev_b32 v0, 6, v29 :: v_dual_mov_b32 v10, 33
	s_mov_b32 s14, s12
	s_mov_b32 s15, s12
	;; [unrolled: 1-line block ×3, first 2 shown]
	s_delay_alu instid0(VALU_DEP_2)
	v_add_nc_u64_e32 v[6:7], v[6:7], v[2:3]
	v_mov_b64_e32 v[16:17], s[14:15]
	v_mov_b64_e32 v[14:15], s[12:13]
	v_dual_mov_b32 v11, v1 :: v_dual_mov_b32 v12, v1
	v_mov_b32_e32 v13, v1
	v_readfirstlane_b32 s16, v6
	v_readfirstlane_b32 s17, v7
	s_clause 0x3
	global_store_b128 v0, v[10:13], s[16:17]
	global_store_b128 v0, v[14:17], s[16:17] offset:16
	global_store_b128 v0, v[14:17], s[16:17] offset:32
	;; [unrolled: 1-line block ×3, first 2 shown]
	s_wait_xcnt 0x0
	s_and_saveexec_b32 s12, s3
	s_cbranch_execz .LBB5_23
; %bb.16:
	v_dual_mov_b32 v12, 0 :: v_dual_mov_b32 v15, s11
	s_mov_b32 s13, exec_lo
	s_clause 0x1
	global_load_b64 v[16:17], v12, s[8:9] offset:32 scope:SCOPE_SYS
	global_load_b64 v[2:3], v12, s[8:9] offset:40
	s_wait_loadcnt 0x0
	v_dual_mov_b32 v14, s10 :: v_dual_bitop2_b32 v3, s11, v3 bitop3:0x40
	v_and_b32_e32 v2, s10, v2
	s_delay_alu instid0(VALU_DEP_1) | instskip(NEXT) | instid1(VALU_DEP_1)
	v_mul_u64_e32 v[2:3], 24, v[2:3]
	v_add_nc_u64_e32 v[10:11], v[4:5], v[2:3]
	global_store_b64 v[10:11], v[16:17], off
	global_wb scope:SCOPE_SYS
	s_wait_storecnt 0x0
	s_wait_xcnt 0x0
	global_atomic_cmpswap_b64 v[4:5], v12, v[14:17], s[8:9] offset:32 th:TH_ATOMIC_RETURN scope:SCOPE_SYS
	s_wait_loadcnt 0x0
	v_cmpx_ne_u64_e64 v[4:5], v[16:17]
	s_cbranch_execz .LBB5_19
; %bb.17:
	s_mov_b32 s14, 0
.LBB5_18:                               ; =>This Inner Loop Header: Depth=1
	v_dual_mov_b32 v2, s10 :: v_dual_mov_b32 v3, s11
	s_sleep 1
	global_store_b64 v[10:11], v[4:5], off
	global_wb scope:SCOPE_SYS
	s_wait_storecnt 0x0
	s_wait_xcnt 0x0
	global_atomic_cmpswap_b64 v[2:3], v12, v[2:5], s[8:9] offset:32 th:TH_ATOMIC_RETURN scope:SCOPE_SYS
	s_wait_loadcnt 0x0
	v_cmp_eq_u64_e32 vcc_lo, v[2:3], v[4:5]
	v_mov_b64_e32 v[4:5], v[2:3]
	s_or_b32 s14, vcc_lo, s14
	s_delay_alu instid0(SALU_CYCLE_1)
	s_and_not1_b32 exec_lo, exec_lo, s14
	s_cbranch_execnz .LBB5_18
.LBB5_19:
	s_or_b32 exec_lo, exec_lo, s13
	v_mov_b32_e32 v5, 0
	s_mov_b32 s14, exec_lo
	s_mov_b32 s13, exec_lo
	v_mbcnt_lo_u32_b32 v4, s14, 0
	global_load_b64 v[2:3], v5, s[8:9] offset:16
	s_wait_xcnt 0x0
	v_cmpx_eq_u32_e32 0, v4
	s_cbranch_execz .LBB5_21
; %bb.20:
	s_bcnt1_i32_b32 s14, s14
	s_delay_alu instid0(SALU_CYCLE_1)
	v_mov_b32_e32 v4, s14
	global_wb scope:SCOPE_SYS
	s_wait_loadcnt 0x0
	s_wait_storecnt 0x0
	global_atomic_add_u64 v[2:3], v[4:5], off offset:8 scope:SCOPE_SYS
.LBB5_21:
	s_wait_xcnt 0x0
	s_or_b32 exec_lo, exec_lo, s13
	s_wait_loadcnt 0x0
	global_load_b64 v[4:5], v[2:3], off offset:16
	s_wait_loadcnt 0x0
	v_cmp_eq_u64_e32 vcc_lo, 0, v[4:5]
	s_cbranch_vccnz .LBB5_23
; %bb.22:
	global_load_b32 v2, v[2:3], off offset:24
	s_wait_xcnt 0x0
	v_mov_b32_e32 v3, 0
	s_wait_loadcnt 0x0
	v_readfirstlane_b32 s13, v2
	global_wb scope:SCOPE_SYS
	s_wait_storecnt 0x0
	global_store_b64 v[4:5], v[2:3], off scope:SCOPE_SYS
	s_and_b32 m0, s13, 0xffffff
	s_sendmsg sendmsg(MSG_INTERRUPT)
.LBB5_23:
	s_wait_xcnt 0x0
	s_or_b32 exec_lo, exec_lo, s12
	v_add_nc_u64_e32 v[2:3], v[6:7], v[0:1]
	s_branch .LBB5_27
.LBB5_24:                               ;   in Loop: Header=BB5_27 Depth=1
	s_wait_xcnt 0x0
	s_or_b32 exec_lo, exec_lo, s12
	s_delay_alu instid0(VALU_DEP_1)
	v_readfirstlane_b32 s12, v1
	s_cmp_eq_u32 s12, 0
	s_cbranch_scc1 .LBB5_26
; %bb.25:                               ;   in Loop: Header=BB5_27 Depth=1
	s_sleep 1
	s_cbranch_execnz .LBB5_27
	s_branch .LBB5_29
.LBB5_26:
	s_branch .LBB5_29
.LBB5_27:                               ; =>This Inner Loop Header: Depth=1
	v_mov_b32_e32 v1, 1
	s_and_saveexec_b32 s12, s3
	s_cbranch_execz .LBB5_24
; %bb.28:                               ;   in Loop: Header=BB5_27 Depth=1
	global_load_b32 v1, v[8:9], off offset:20 scope:SCOPE_SYS
	s_wait_loadcnt 0x0
	global_inv scope:SCOPE_SYS
	v_and_b32_e32 v1, 1, v1
	s_branch .LBB5_24
.LBB5_29:
	global_load_b64 v[2:3], v[2:3], off
	s_wait_xcnt 0x0
	s_and_saveexec_b32 s12, s3
	s_cbranch_execz .LBB5_33
; %bb.30:
	v_mov_b32_e32 v1, 0
	s_clause 0x2
	global_load_b64 v[4:5], v1, s[8:9] offset:40
	global_load_b64 v[12:13], v1, s[8:9] offset:24 scope:SCOPE_SYS
	global_load_b64 v[6:7], v1, s[8:9]
	s_wait_loadcnt 0x2
	v_readfirstlane_b32 s14, v4
	v_readfirstlane_b32 s15, v5
	s_add_nc_u64 s[16:17], s[14:15], 1
	s_delay_alu instid0(SALU_CYCLE_1) | instskip(NEXT) | instid1(SALU_CYCLE_1)
	s_add_nc_u64 s[10:11], s[16:17], s[10:11]
	s_cmp_eq_u64 s[10:11], 0
	s_cselect_b32 s11, s17, s11
	s_cselect_b32 s10, s16, s10
	v_mov_b32_e32 v11, s11
	s_and_b64 s[14:15], s[10:11], s[14:15]
	v_mov_b32_e32 v10, s10
	s_mul_u64 s[14:15], s[14:15], 24
	s_wait_loadcnt 0x0
	v_add_nc_u64_e32 v[8:9], s[14:15], v[6:7]
	global_store_b64 v[8:9], v[12:13], off
	global_wb scope:SCOPE_SYS
	s_wait_storecnt 0x0
	s_wait_xcnt 0x0
	global_atomic_cmpswap_b64 v[6:7], v1, v[10:13], s[8:9] offset:24 th:TH_ATOMIC_RETURN scope:SCOPE_SYS
	s_wait_loadcnt 0x0
	v_cmp_ne_u64_e32 vcc_lo, v[6:7], v[12:13]
	s_and_b32 exec_lo, exec_lo, vcc_lo
	s_cbranch_execz .LBB5_33
; %bb.31:
	s_mov_b32 s3, 0
.LBB5_32:                               ; =>This Inner Loop Header: Depth=1
	v_dual_mov_b32 v4, s10 :: v_dual_mov_b32 v5, s11
	s_sleep 1
	global_store_b64 v[8:9], v[6:7], off
	global_wb scope:SCOPE_SYS
	s_wait_storecnt 0x0
	s_wait_xcnt 0x0
	global_atomic_cmpswap_b64 v[4:5], v1, v[4:7], s[8:9] offset:24 th:TH_ATOMIC_RETURN scope:SCOPE_SYS
	s_wait_loadcnt 0x0
	v_cmp_eq_u64_e32 vcc_lo, v[4:5], v[6:7]
	v_mov_b64_e32 v[6:7], v[4:5]
	s_or_b32 s3, vcc_lo, s3
	s_delay_alu instid0(SALU_CYCLE_1)
	s_and_not1_b32 exec_lo, exec_lo, s3
	s_cbranch_execnz .LBB5_32
.LBB5_33:
	s_or_b32 exec_lo, exec_lo, s12
	s_get_pc_i64 s[10:11]
	s_add_nc_u64 s[10:11], s[10:11], .str.8@rel64+4
	s_delay_alu instid0(SALU_CYCLE_1)
	s_cmp_lg_u64 s[10:11], 0
	s_cbranch_scc0 .LBB5_112
; %bb.34:
	v_mov_b64_e32 v[10:11], 0x100000002
	s_wait_loadcnt 0x0
	v_dual_mov_b32 v9, 0 :: v_dual_bitop2_b32 v30, 2, v2 bitop3:0x40
	v_dual_mov_b32 v5, v3 :: v_dual_bitop2_b32 v4, -3, v2 bitop3:0x40
	s_mov_b64 s[12:13], 0x4d
	s_branch .LBB5_36
.LBB5_35:                               ;   in Loop: Header=BB5_36 Depth=1
	s_or_b32 exec_lo, exec_lo, s18
	s_sub_nc_u64 s[12:13], s[12:13], s[14:15]
	s_add_nc_u64 s[10:11], s[10:11], s[14:15]
	s_cmp_lg_u64 s[12:13], 0
	s_cbranch_scc0 .LBB5_111
.LBB5_36:                               ; =>This Loop Header: Depth=1
                                        ;     Child Loop BB5_39 Depth 2
                                        ;     Child Loop BB5_46 Depth 2
                                        ;     Child Loop BB5_53 Depth 2
                                        ;     Child Loop BB5_60 Depth 2
                                        ;     Child Loop BB5_67 Depth 2
                                        ;     Child Loop BB5_74 Depth 2
                                        ;     Child Loop BB5_81 Depth 2
                                        ;     Child Loop BB5_88 Depth 2
                                        ;     Child Loop BB5_96 Depth 2
                                        ;     Child Loop BB5_105 Depth 2
                                        ;     Child Loop BB5_110 Depth 2
	v_min_u64 v[6:7], s[12:13], 56
	v_cmp_gt_u64_e64 s3, s[12:13], 7
	s_and_b32 vcc_lo, exec_lo, s3
	v_readfirstlane_b32 s14, v6
	v_readfirstlane_b32 s15, v7
	s_cbranch_vccnz .LBB5_41
; %bb.37:                               ;   in Loop: Header=BB5_36 Depth=1
	v_mov_b64_e32 v[6:7], 0
	s_cmp_eq_u64 s[12:13], 0
	s_cbranch_scc1 .LBB5_40
; %bb.38:                               ;   in Loop: Header=BB5_36 Depth=1
	s_mov_b64 s[16:17], 0
	s_mov_b64 s[18:19], 0
.LBB5_39:                               ;   Parent Loop BB5_36 Depth=1
                                        ; =>  This Inner Loop Header: Depth=2
	s_wait_xcnt 0x0
	s_add_nc_u64 s[20:21], s[10:11], s[18:19]
	s_add_nc_u64 s[18:19], s[18:19], 1
	global_load_u8 v1, v9, s[20:21]
	s_cmp_lg_u32 s14, s18
	s_wait_loadcnt 0x0
	v_and_b32_e32 v8, 0xffff, v1
	s_delay_alu instid0(VALU_DEP_1) | instskip(SKIP_1) | instid1(VALU_DEP_1)
	v_lshlrev_b64_e32 v[12:13], s16, v[8:9]
	s_add_nc_u64 s[16:17], s[16:17], 8
	v_or_b32_e32 v6, v12, v6
	s_delay_alu instid0(VALU_DEP_2)
	v_or_b32_e32 v7, v13, v7
	s_cbranch_scc1 .LBB5_39
.LBB5_40:                               ;   in Loop: Header=BB5_36 Depth=1
	s_mov_b64 s[18:19], s[10:11]
	s_mov_b32 s3, 0
	s_cbranch_execz .LBB5_42
	s_branch .LBB5_43
.LBB5_41:                               ;   in Loop: Header=BB5_36 Depth=1
	s_add_nc_u64 s[18:19], s[10:11], 8
	s_mov_b32 s3, 0
.LBB5_42:                               ;   in Loop: Header=BB5_36 Depth=1
	global_load_b64 v[6:7], v9, s[10:11]
	s_add_co_i32 s3, s14, -8
.LBB5_43:                               ;   in Loop: Header=BB5_36 Depth=1
	s_delay_alu instid0(SALU_CYCLE_1)
	s_cmp_gt_u32 s3, 7
	s_cbranch_scc1 .LBB5_48
; %bb.44:                               ;   in Loop: Header=BB5_36 Depth=1
	v_mov_b64_e32 v[12:13], 0
	s_cmp_eq_u32 s3, 0
	s_cbranch_scc1 .LBB5_47
; %bb.45:                               ;   in Loop: Header=BB5_36 Depth=1
	s_mov_b64 s[16:17], 0
	s_wait_xcnt 0x0
	s_mov_b64 s[20:21], 0
.LBB5_46:                               ;   Parent Loop BB5_36 Depth=1
                                        ; =>  This Inner Loop Header: Depth=2
	s_wait_xcnt 0x0
	s_add_nc_u64 s[24:25], s[18:19], s[20:21]
	s_add_nc_u64 s[20:21], s[20:21], 1
	global_load_u8 v1, v9, s[24:25]
	s_cmp_lg_u32 s3, s20
	s_wait_loadcnt 0x0
	v_and_b32_e32 v8, 0xffff, v1
	s_delay_alu instid0(VALU_DEP_1) | instskip(SKIP_1) | instid1(VALU_DEP_1)
	v_lshlrev_b64_e32 v[14:15], s16, v[8:9]
	s_add_nc_u64 s[16:17], s[16:17], 8
	v_or_b32_e32 v12, v14, v12
	s_delay_alu instid0(VALU_DEP_2)
	v_or_b32_e32 v13, v15, v13
	s_cbranch_scc1 .LBB5_46
.LBB5_47:                               ;   in Loop: Header=BB5_36 Depth=1
	s_wait_xcnt 0x0
	s_mov_b64 s[16:17], s[18:19]
	s_mov_b32 s24, 0
	s_cbranch_execz .LBB5_49
	s_branch .LBB5_50
.LBB5_48:                               ;   in Loop: Header=BB5_36 Depth=1
	s_add_nc_u64 s[16:17], s[18:19], 8
	s_wait_xcnt 0x0
                                        ; implicit-def: $vgpr12_vgpr13
	s_mov_b32 s24, 0
.LBB5_49:                               ;   in Loop: Header=BB5_36 Depth=1
	global_load_b64 v[12:13], v9, s[18:19]
	s_add_co_i32 s24, s3, -8
.LBB5_50:                               ;   in Loop: Header=BB5_36 Depth=1
	s_delay_alu instid0(SALU_CYCLE_1)
	s_cmp_gt_u32 s24, 7
	s_cbranch_scc1 .LBB5_55
; %bb.51:                               ;   in Loop: Header=BB5_36 Depth=1
	v_mov_b64_e32 v[14:15], 0
	s_cmp_eq_u32 s24, 0
	s_cbranch_scc1 .LBB5_54
; %bb.52:                               ;   in Loop: Header=BB5_36 Depth=1
	s_wait_xcnt 0x0
	s_mov_b64 s[18:19], 0
	s_mov_b64 s[20:21], 0
.LBB5_53:                               ;   Parent Loop BB5_36 Depth=1
                                        ; =>  This Inner Loop Header: Depth=2
	s_wait_xcnt 0x0
	s_add_nc_u64 s[26:27], s[16:17], s[20:21]
	s_add_nc_u64 s[20:21], s[20:21], 1
	global_load_u8 v1, v9, s[26:27]
	s_cmp_lg_u32 s24, s20
	s_wait_loadcnt 0x0
	v_and_b32_e32 v8, 0xffff, v1
	s_delay_alu instid0(VALU_DEP_1) | instskip(SKIP_1) | instid1(VALU_DEP_1)
	v_lshlrev_b64_e32 v[16:17], s18, v[8:9]
	s_add_nc_u64 s[18:19], s[18:19], 8
	v_or_b32_e32 v14, v16, v14
	s_delay_alu instid0(VALU_DEP_2)
	v_or_b32_e32 v15, v17, v15
	s_cbranch_scc1 .LBB5_53
.LBB5_54:                               ;   in Loop: Header=BB5_36 Depth=1
	s_wait_xcnt 0x0
	s_mov_b64 s[18:19], s[16:17]
	s_mov_b32 s3, 0
	s_cbranch_execz .LBB5_56
	s_branch .LBB5_57
.LBB5_55:                               ;   in Loop: Header=BB5_36 Depth=1
	s_wait_xcnt 0x0
	s_add_nc_u64 s[18:19], s[16:17], 8
	s_mov_b32 s3, 0
.LBB5_56:                               ;   in Loop: Header=BB5_36 Depth=1
	global_load_b64 v[14:15], v9, s[16:17]
	s_add_co_i32 s3, s24, -8
.LBB5_57:                               ;   in Loop: Header=BB5_36 Depth=1
	s_delay_alu instid0(SALU_CYCLE_1)
	s_cmp_gt_u32 s3, 7
	s_cbranch_scc1 .LBB5_62
; %bb.58:                               ;   in Loop: Header=BB5_36 Depth=1
	v_mov_b64_e32 v[16:17], 0
	s_cmp_eq_u32 s3, 0
	s_cbranch_scc1 .LBB5_61
; %bb.59:                               ;   in Loop: Header=BB5_36 Depth=1
	s_wait_xcnt 0x0
	s_mov_b64 s[16:17], 0
	s_mov_b64 s[20:21], 0
.LBB5_60:                               ;   Parent Loop BB5_36 Depth=1
                                        ; =>  This Inner Loop Header: Depth=2
	s_wait_xcnt 0x0
	s_add_nc_u64 s[24:25], s[18:19], s[20:21]
	s_add_nc_u64 s[20:21], s[20:21], 1
	global_load_u8 v1, v9, s[24:25]
	s_cmp_lg_u32 s3, s20
	s_wait_loadcnt 0x0
	v_and_b32_e32 v8, 0xffff, v1
	s_delay_alu instid0(VALU_DEP_1) | instskip(SKIP_1) | instid1(VALU_DEP_1)
	v_lshlrev_b64_e32 v[18:19], s16, v[8:9]
	s_add_nc_u64 s[16:17], s[16:17], 8
	v_or_b32_e32 v16, v18, v16
	s_delay_alu instid0(VALU_DEP_2)
	v_or_b32_e32 v17, v19, v17
	s_cbranch_scc1 .LBB5_60
.LBB5_61:                               ;   in Loop: Header=BB5_36 Depth=1
	s_wait_xcnt 0x0
	s_mov_b64 s[16:17], s[18:19]
	s_mov_b32 s24, 0
	s_cbranch_execz .LBB5_63
	s_branch .LBB5_64
.LBB5_62:                               ;   in Loop: Header=BB5_36 Depth=1
	s_wait_xcnt 0x0
	s_add_nc_u64 s[16:17], s[18:19], 8
                                        ; implicit-def: $vgpr16_vgpr17
	s_mov_b32 s24, 0
.LBB5_63:                               ;   in Loop: Header=BB5_36 Depth=1
	global_load_b64 v[16:17], v9, s[18:19]
	s_add_co_i32 s24, s3, -8
.LBB5_64:                               ;   in Loop: Header=BB5_36 Depth=1
	s_delay_alu instid0(SALU_CYCLE_1)
	s_cmp_gt_u32 s24, 7
	s_cbranch_scc1 .LBB5_69
; %bb.65:                               ;   in Loop: Header=BB5_36 Depth=1
	v_mov_b64_e32 v[18:19], 0
	s_cmp_eq_u32 s24, 0
	s_cbranch_scc1 .LBB5_68
; %bb.66:                               ;   in Loop: Header=BB5_36 Depth=1
	s_wait_xcnt 0x0
	s_mov_b64 s[18:19], 0
	s_mov_b64 s[20:21], 0
.LBB5_67:                               ;   Parent Loop BB5_36 Depth=1
                                        ; =>  This Inner Loop Header: Depth=2
	s_wait_xcnt 0x0
	s_add_nc_u64 s[26:27], s[16:17], s[20:21]
	s_add_nc_u64 s[20:21], s[20:21], 1
	global_load_u8 v1, v9, s[26:27]
	s_cmp_lg_u32 s24, s20
	s_wait_loadcnt 0x0
	v_and_b32_e32 v8, 0xffff, v1
	s_delay_alu instid0(VALU_DEP_1) | instskip(SKIP_1) | instid1(VALU_DEP_1)
	v_lshlrev_b64_e32 v[20:21], s18, v[8:9]
	s_add_nc_u64 s[18:19], s[18:19], 8
	v_or_b32_e32 v18, v20, v18
	s_delay_alu instid0(VALU_DEP_2)
	v_or_b32_e32 v19, v21, v19
	s_cbranch_scc1 .LBB5_67
.LBB5_68:                               ;   in Loop: Header=BB5_36 Depth=1
	s_wait_xcnt 0x0
	s_mov_b64 s[18:19], s[16:17]
	s_mov_b32 s3, 0
	s_cbranch_execz .LBB5_70
	s_branch .LBB5_71
.LBB5_69:                               ;   in Loop: Header=BB5_36 Depth=1
	s_wait_xcnt 0x0
	s_add_nc_u64 s[18:19], s[16:17], 8
	s_mov_b32 s3, 0
.LBB5_70:                               ;   in Loop: Header=BB5_36 Depth=1
	global_load_b64 v[18:19], v9, s[16:17]
	s_add_co_i32 s3, s24, -8
.LBB5_71:                               ;   in Loop: Header=BB5_36 Depth=1
	s_delay_alu instid0(SALU_CYCLE_1)
	s_cmp_gt_u32 s3, 7
	s_cbranch_scc1 .LBB5_76
; %bb.72:                               ;   in Loop: Header=BB5_36 Depth=1
	v_mov_b64_e32 v[20:21], 0
	s_cmp_eq_u32 s3, 0
	s_cbranch_scc1 .LBB5_75
; %bb.73:                               ;   in Loop: Header=BB5_36 Depth=1
	s_wait_xcnt 0x0
	s_mov_b64 s[16:17], 0
	s_mov_b64 s[20:21], 0
.LBB5_74:                               ;   Parent Loop BB5_36 Depth=1
                                        ; =>  This Inner Loop Header: Depth=2
	s_wait_xcnt 0x0
	s_add_nc_u64 s[24:25], s[18:19], s[20:21]
	s_add_nc_u64 s[20:21], s[20:21], 1
	global_load_u8 v1, v9, s[24:25]
	s_cmp_lg_u32 s3, s20
	s_wait_loadcnt 0x0
	v_and_b32_e32 v8, 0xffff, v1
	s_delay_alu instid0(VALU_DEP_1) | instskip(SKIP_1) | instid1(VALU_DEP_1)
	v_lshlrev_b64_e32 v[22:23], s16, v[8:9]
	s_add_nc_u64 s[16:17], s[16:17], 8
	v_or_b32_e32 v20, v22, v20
	s_delay_alu instid0(VALU_DEP_2)
	v_or_b32_e32 v21, v23, v21
	s_cbranch_scc1 .LBB5_74
.LBB5_75:                               ;   in Loop: Header=BB5_36 Depth=1
	s_wait_xcnt 0x0
	s_mov_b64 s[16:17], s[18:19]
	s_mov_b32 s24, 0
	s_cbranch_execz .LBB5_77
	s_branch .LBB5_78
.LBB5_76:                               ;   in Loop: Header=BB5_36 Depth=1
	s_wait_xcnt 0x0
	s_add_nc_u64 s[16:17], s[18:19], 8
                                        ; implicit-def: $vgpr20_vgpr21
	s_mov_b32 s24, 0
.LBB5_77:                               ;   in Loop: Header=BB5_36 Depth=1
	global_load_b64 v[20:21], v9, s[18:19]
	s_add_co_i32 s24, s3, -8
.LBB5_78:                               ;   in Loop: Header=BB5_36 Depth=1
	s_delay_alu instid0(SALU_CYCLE_1)
	s_cmp_gt_u32 s24, 7
	s_cbranch_scc1 .LBB5_83
; %bb.79:                               ;   in Loop: Header=BB5_36 Depth=1
	v_mov_b64_e32 v[22:23], 0
	s_cmp_eq_u32 s24, 0
	s_cbranch_scc1 .LBB5_82
; %bb.80:                               ;   in Loop: Header=BB5_36 Depth=1
	s_wait_xcnt 0x0
	s_mov_b64 s[18:19], 0
	s_mov_b64 s[20:21], s[16:17]
.LBB5_81:                               ;   Parent Loop BB5_36 Depth=1
                                        ; =>  This Inner Loop Header: Depth=2
	global_load_u8 v1, v9, s[20:21]
	s_add_co_i32 s24, s24, -1
	s_wait_xcnt 0x0
	s_add_nc_u64 s[20:21], s[20:21], 1
	s_cmp_lg_u32 s24, 0
	s_wait_loadcnt 0x0
	v_and_b32_e32 v8, 0xffff, v1
	s_delay_alu instid0(VALU_DEP_1) | instskip(SKIP_1) | instid1(VALU_DEP_1)
	v_lshlrev_b64_e32 v[24:25], s18, v[8:9]
	s_add_nc_u64 s[18:19], s[18:19], 8
	v_or_b32_e32 v22, v24, v22
	s_delay_alu instid0(VALU_DEP_2)
	v_or_b32_e32 v23, v25, v23
	s_cbranch_scc1 .LBB5_81
.LBB5_82:                               ;   in Loop: Header=BB5_36 Depth=1
	s_cbranch_execz .LBB5_84
	s_branch .LBB5_85
.LBB5_83:                               ;   in Loop: Header=BB5_36 Depth=1
.LBB5_84:                               ;   in Loop: Header=BB5_36 Depth=1
	global_load_b64 v[22:23], v9, s[16:17]
.LBB5_85:                               ;   in Loop: Header=BB5_36 Depth=1
	v_readfirstlane_b32 s3, v29
	v_mov_b64_e32 v[32:33], 0
	s_delay_alu instid0(VALU_DEP_2)
	v_cmp_eq_u32_e64 s3, s3, v29
	s_wait_xcnt 0x0
	s_and_saveexec_b32 s16, s3
	s_cbranch_execz .LBB5_91
; %bb.86:                               ;   in Loop: Header=BB5_36 Depth=1
	global_load_b64 v[26:27], v9, s[8:9] offset:24 scope:SCOPE_SYS
	s_wait_loadcnt 0x0
	global_inv scope:SCOPE_SYS
	s_clause 0x1
	global_load_b64 v[24:25], v9, s[8:9] offset:40
	global_load_b64 v[32:33], v9, s[8:9]
	s_mov_b32 s17, exec_lo
	s_wait_loadcnt 0x1
	v_and_b32_e32 v24, v24, v26
	v_and_b32_e32 v25, v25, v27
	s_delay_alu instid0(VALU_DEP_1) | instskip(SKIP_1) | instid1(VALU_DEP_1)
	v_mul_u64_e32 v[24:25], 24, v[24:25]
	s_wait_loadcnt 0x0
	v_add_nc_u64_e32 v[24:25], v[32:33], v[24:25]
	global_load_b64 v[24:25], v[24:25], off scope:SCOPE_SYS
	s_wait_xcnt 0x0
	s_wait_loadcnt 0x0
	global_atomic_cmpswap_b64 v[32:33], v9, v[24:27], s[8:9] offset:24 th:TH_ATOMIC_RETURN scope:SCOPE_SYS
	s_wait_loadcnt 0x0
	global_inv scope:SCOPE_SYS
	s_wait_xcnt 0x0
	v_cmpx_ne_u64_e64 v[32:33], v[26:27]
	s_cbranch_execz .LBB5_90
; %bb.87:                               ;   in Loop: Header=BB5_36 Depth=1
	s_mov_b32 s18, 0
.LBB5_88:                               ;   Parent Loop BB5_36 Depth=1
                                        ; =>  This Inner Loop Header: Depth=2
	s_sleep 1
	s_clause 0x1
	global_load_b64 v[24:25], v9, s[8:9] offset:40
	global_load_b64 v[34:35], v9, s[8:9]
	v_mov_b64_e32 v[26:27], v[32:33]
	s_wait_loadcnt 0x1
	s_delay_alu instid0(VALU_DEP_1) | instskip(SKIP_1) | instid1(VALU_DEP_1)
	v_and_b32_e32 v1, v24, v26
	s_wait_loadcnt 0x0
	v_mad_nc_u64_u32 v[32:33], v1, 24, v[34:35]
	s_delay_alu instid0(VALU_DEP_3) | instskip(NEXT) | instid1(VALU_DEP_1)
	v_and_b32_e32 v1, v25, v27
	v_mad_u32 v33, v1, 24, v33
	global_load_b64 v[24:25], v[32:33], off scope:SCOPE_SYS
	s_wait_xcnt 0x0
	s_wait_loadcnt 0x0
	global_atomic_cmpswap_b64 v[32:33], v9, v[24:27], s[8:9] offset:24 th:TH_ATOMIC_RETURN scope:SCOPE_SYS
	s_wait_loadcnt 0x0
	global_inv scope:SCOPE_SYS
	v_cmp_eq_u64_e32 vcc_lo, v[32:33], v[26:27]
	s_or_b32 s18, vcc_lo, s18
	s_wait_xcnt 0x0
	s_and_not1_b32 exec_lo, exec_lo, s18
	s_cbranch_execnz .LBB5_88
; %bb.89:                               ;   in Loop: Header=BB5_36 Depth=1
	s_or_b32 exec_lo, exec_lo, s18
.LBB5_90:                               ;   in Loop: Header=BB5_36 Depth=1
	s_delay_alu instid0(SALU_CYCLE_1)
	s_or_b32 exec_lo, exec_lo, s17
.LBB5_91:                               ;   in Loop: Header=BB5_36 Depth=1
	s_delay_alu instid0(SALU_CYCLE_1)
	s_or_b32 exec_lo, exec_lo, s16
	s_clause 0x1
	global_load_b64 v[34:35], v9, s[8:9] offset:40
	global_load_b128 v[24:27], v9, s[8:9]
	v_readfirstlane_b32 s16, v32
	v_readfirstlane_b32 s17, v33
	s_mov_b32 s18, exec_lo
	s_wait_loadcnt 0x1
	v_and_b32_e32 v34, s16, v34
	v_and_b32_e32 v35, s17, v35
	s_delay_alu instid0(VALU_DEP_1) | instskip(SKIP_1) | instid1(VALU_DEP_1)
	v_mul_u64_e32 v[32:33], 24, v[34:35]
	s_wait_loadcnt 0x0
	v_add_nc_u64_e32 v[32:33], v[24:25], v[32:33]
	s_wait_xcnt 0x0
	s_and_saveexec_b32 s19, s3
	s_cbranch_execz .LBB5_93
; %bb.92:                               ;   in Loop: Header=BB5_36 Depth=1
	v_mov_b32_e32 v8, s18
	global_store_b128 v[32:33], v[8:11], off offset:8
.LBB5_93:                               ;   in Loop: Header=BB5_36 Depth=1
	s_wait_xcnt 0x0
	s_or_b32 exec_lo, exec_lo, s19
	v_cmp_lt_u64_e64 vcc_lo, s[12:13], 57
	v_lshlrev_b64_e32 v[34:35], 12, v[34:35]
	v_and_b32_e32 v4, 0xffffff1f, v4
	s_lshl_b32 s18, s14, 2
	s_delay_alu instid0(SALU_CYCLE_1) | instskip(SKIP_1) | instid1(VALU_DEP_3)
	s_add_co_i32 s18, s18, 28
	v_cndmask_b32_e32 v1, 0, v30, vcc_lo
	v_add_nc_u64_e32 v[26:27], v[26:27], v[34:35]
	s_delay_alu instid0(VALU_DEP_2) | instskip(NEXT) | instid1(VALU_DEP_2)
	v_or_b32_e32 v1, v4, v1
	v_readfirstlane_b32 s19, v27
	s_delay_alu instid0(VALU_DEP_2) | instskip(NEXT) | instid1(VALU_DEP_4)
	v_and_or_b32 v4, 0x1e0, s18, v1
	v_readfirstlane_b32 s18, v26
	s_clause 0x3
	global_store_b128 v0, v[4:7], s[18:19]
	global_store_b128 v0, v[12:15], s[18:19] offset:16
	global_store_b128 v0, v[16:19], s[18:19] offset:32
	;; [unrolled: 1-line block ×3, first 2 shown]
	s_wait_xcnt 0x0
	s_and_saveexec_b32 s18, s3
	s_cbranch_execz .LBB5_101
; %bb.94:                               ;   in Loop: Header=BB5_36 Depth=1
	s_clause 0x1
	global_load_b64 v[16:17], v9, s[8:9] offset:32 scope:SCOPE_SYS
	global_load_b64 v[4:5], v9, s[8:9] offset:40
	s_mov_b32 s19, exec_lo
	v_dual_mov_b32 v14, s16 :: v_dual_mov_b32 v15, s17
	s_wait_loadcnt 0x0
	v_and_b32_e32 v5, s17, v5
	v_and_b32_e32 v4, s16, v4
	s_delay_alu instid0(VALU_DEP_1) | instskip(NEXT) | instid1(VALU_DEP_1)
	v_mul_u64_e32 v[4:5], 24, v[4:5]
	v_add_nc_u64_e32 v[12:13], v[24:25], v[4:5]
	global_store_b64 v[12:13], v[16:17], off
	global_wb scope:SCOPE_SYS
	s_wait_storecnt 0x0
	s_wait_xcnt 0x0
	global_atomic_cmpswap_b64 v[6:7], v9, v[14:17], s[8:9] offset:32 th:TH_ATOMIC_RETURN scope:SCOPE_SYS
	s_wait_loadcnt 0x0
	v_cmpx_ne_u64_e64 v[6:7], v[16:17]
	s_cbranch_execz .LBB5_97
; %bb.95:                               ;   in Loop: Header=BB5_36 Depth=1
	s_mov_b32 s20, 0
.LBB5_96:                               ;   Parent Loop BB5_36 Depth=1
                                        ; =>  This Inner Loop Header: Depth=2
	v_dual_mov_b32 v4, s16 :: v_dual_mov_b32 v5, s17
	s_sleep 1
	global_store_b64 v[12:13], v[6:7], off
	global_wb scope:SCOPE_SYS
	s_wait_storecnt 0x0
	s_wait_xcnt 0x0
	global_atomic_cmpswap_b64 v[4:5], v9, v[4:7], s[8:9] offset:32 th:TH_ATOMIC_RETURN scope:SCOPE_SYS
	s_wait_loadcnt 0x0
	v_cmp_eq_u64_e32 vcc_lo, v[4:5], v[6:7]
	v_mov_b64_e32 v[6:7], v[4:5]
	s_or_b32 s20, vcc_lo, s20
	s_delay_alu instid0(SALU_CYCLE_1)
	s_and_not1_b32 exec_lo, exec_lo, s20
	s_cbranch_execnz .LBB5_96
.LBB5_97:                               ;   in Loop: Header=BB5_36 Depth=1
	s_or_b32 exec_lo, exec_lo, s19
	global_load_b64 v[4:5], v9, s[8:9] offset:16
	s_mov_b32 s20, exec_lo
	s_mov_b32 s19, exec_lo
	v_mbcnt_lo_u32_b32 v1, s20, 0
	s_wait_xcnt 0x0
	s_delay_alu instid0(VALU_DEP_1)
	v_cmpx_eq_u32_e32 0, v1
	s_cbranch_execz .LBB5_99
; %bb.98:                               ;   in Loop: Header=BB5_36 Depth=1
	s_bcnt1_i32_b32 s20, s20
	s_delay_alu instid0(SALU_CYCLE_1)
	v_mov_b32_e32 v8, s20
	global_wb scope:SCOPE_SYS
	s_wait_loadcnt 0x0
	s_wait_storecnt 0x0
	global_atomic_add_u64 v[4:5], v[8:9], off offset:8 scope:SCOPE_SYS
.LBB5_99:                               ;   in Loop: Header=BB5_36 Depth=1
	s_wait_xcnt 0x0
	s_or_b32 exec_lo, exec_lo, s19
	s_wait_loadcnt 0x0
	global_load_b64 v[6:7], v[4:5], off offset:16
	s_wait_loadcnt 0x0
	v_cmp_eq_u64_e32 vcc_lo, 0, v[6:7]
	s_cbranch_vccnz .LBB5_101
; %bb.100:                              ;   in Loop: Header=BB5_36 Depth=1
	global_load_b32 v8, v[4:5], off offset:24
	s_wait_loadcnt 0x0
	v_readfirstlane_b32 s19, v8
	global_wb scope:SCOPE_SYS
	s_wait_storecnt 0x0
	s_wait_xcnt 0x0
	global_store_b64 v[6:7], v[8:9], off scope:SCOPE_SYS
	s_and_b32 m0, s19, 0xffffff
	s_sendmsg sendmsg(MSG_INTERRUPT)
.LBB5_101:                              ;   in Loop: Header=BB5_36 Depth=1
	s_wait_xcnt 0x0
	s_or_b32 exec_lo, exec_lo, s18
	v_mov_b32_e32 v1, v9
	s_delay_alu instid0(VALU_DEP_1)
	v_add_nc_u64_e32 v[4:5], v[26:27], v[0:1]
	s_branch .LBB5_105
.LBB5_102:                              ;   in Loop: Header=BB5_105 Depth=2
	s_wait_xcnt 0x0
	s_or_b32 exec_lo, exec_lo, s18
	s_delay_alu instid0(VALU_DEP_1)
	v_readfirstlane_b32 s18, v1
	s_cmp_eq_u32 s18, 0
	s_cbranch_scc1 .LBB5_104
; %bb.103:                              ;   in Loop: Header=BB5_105 Depth=2
	s_sleep 1
	s_cbranch_execnz .LBB5_105
	s_branch .LBB5_107
.LBB5_104:                              ;   in Loop: Header=BB5_36 Depth=1
	s_branch .LBB5_107
.LBB5_105:                              ;   Parent Loop BB5_36 Depth=1
                                        ; =>  This Inner Loop Header: Depth=2
	v_mov_b32_e32 v1, 1
	s_and_saveexec_b32 s18, s3
	s_cbranch_execz .LBB5_102
; %bb.106:                              ;   in Loop: Header=BB5_105 Depth=2
	global_load_b32 v1, v[32:33], off offset:20 scope:SCOPE_SYS
	s_wait_loadcnt 0x0
	global_inv scope:SCOPE_SYS
	v_and_b32_e32 v1, 1, v1
	s_branch .LBB5_102
.LBB5_107:                              ;   in Loop: Header=BB5_36 Depth=1
	global_load_b64 v[4:5], v[4:5], off
	s_wait_xcnt 0x0
	s_and_saveexec_b32 s18, s3
	s_cbranch_execz .LBB5_35
; %bb.108:                              ;   in Loop: Header=BB5_36 Depth=1
	s_clause 0x2
	global_load_b64 v[6:7], v9, s[8:9] offset:40
	global_load_b64 v[16:17], v9, s[8:9] offset:24 scope:SCOPE_SYS
	global_load_b64 v[12:13], v9, s[8:9]
	s_wait_loadcnt 0x2
	v_readfirstlane_b32 s20, v6
	v_readfirstlane_b32 s21, v7
	s_add_nc_u64 s[24:25], s[20:21], 1
	s_delay_alu instid0(SALU_CYCLE_1) | instskip(NEXT) | instid1(SALU_CYCLE_1)
	s_add_nc_u64 s[16:17], s[24:25], s[16:17]
	s_cmp_eq_u64 s[16:17], 0
	s_cselect_b32 s17, s25, s17
	s_cselect_b32 s16, s24, s16
	s_delay_alu instid0(SALU_CYCLE_1) | instskip(SKIP_1) | instid1(SALU_CYCLE_1)
	v_dual_mov_b32 v15, s17 :: v_dual_mov_b32 v14, s16
	s_and_b64 s[20:21], s[16:17], s[20:21]
	s_mul_u64 s[20:21], s[20:21], 24
	s_wait_loadcnt 0x0
	v_add_nc_u64_e32 v[6:7], s[20:21], v[12:13]
	global_store_b64 v[6:7], v[16:17], off
	global_wb scope:SCOPE_SYS
	s_wait_storecnt 0x0
	s_wait_xcnt 0x0
	global_atomic_cmpswap_b64 v[14:15], v9, v[14:17], s[8:9] offset:24 th:TH_ATOMIC_RETURN scope:SCOPE_SYS
	s_wait_loadcnt 0x0
	v_cmp_ne_u64_e32 vcc_lo, v[14:15], v[16:17]
	s_and_b32 exec_lo, exec_lo, vcc_lo
	s_cbranch_execz .LBB5_35
; %bb.109:                              ;   in Loop: Header=BB5_36 Depth=1
	s_mov_b32 s3, 0
.LBB5_110:                              ;   Parent Loop BB5_36 Depth=1
                                        ; =>  This Inner Loop Header: Depth=2
	v_dual_mov_b32 v12, s16 :: v_dual_mov_b32 v13, s17
	s_sleep 1
	global_store_b64 v[6:7], v[14:15], off
	global_wb scope:SCOPE_SYS
	s_wait_storecnt 0x0
	s_wait_xcnt 0x0
	global_atomic_cmpswap_b64 v[12:13], v9, v[12:15], s[8:9] offset:24 th:TH_ATOMIC_RETURN scope:SCOPE_SYS
	s_wait_loadcnt 0x0
	v_cmp_eq_u64_e32 vcc_lo, v[12:13], v[14:15]
	v_mov_b64_e32 v[14:15], v[12:13]
	s_or_b32 s3, vcc_lo, s3
	s_delay_alu instid0(SALU_CYCLE_1)
	s_and_not1_b32 exec_lo, exec_lo, s3
	s_cbranch_execnz .LBB5_110
	s_branch .LBB5_35
.LBB5_111:
	s_branch .LBB5_140
.LBB5_112:
                                        ; implicit-def: $vgpr4_vgpr5
	s_cbranch_execz .LBB5_140
; %bb.113:
	v_readfirstlane_b32 s3, v29
	s_wait_loadcnt 0x0
	v_mov_b64_e32 v[4:5], 0
	s_delay_alu instid0(VALU_DEP_2)
	v_cmp_eq_u32_e64 s3, s3, v29
	s_and_saveexec_b32 s10, s3
	s_cbranch_execz .LBB5_119
; %bb.114:
	v_mov_b32_e32 v1, 0
	s_mov_b32 s11, exec_lo
	global_load_b64 v[6:7], v1, s[8:9] offset:24 scope:SCOPE_SYS
	s_wait_loadcnt 0x0
	global_inv scope:SCOPE_SYS
	s_clause 0x1
	global_load_b64 v[4:5], v1, s[8:9] offset:40
	global_load_b64 v[8:9], v1, s[8:9]
	s_wait_loadcnt 0x1
	v_and_b32_e32 v4, v4, v6
	v_and_b32_e32 v5, v5, v7
	s_delay_alu instid0(VALU_DEP_1) | instskip(SKIP_1) | instid1(VALU_DEP_1)
	v_mul_u64_e32 v[4:5], 24, v[4:5]
	s_wait_loadcnt 0x0
	v_add_nc_u64_e32 v[4:5], v[8:9], v[4:5]
	global_load_b64 v[4:5], v[4:5], off scope:SCOPE_SYS
	s_wait_xcnt 0x0
	s_wait_loadcnt 0x0
	global_atomic_cmpswap_b64 v[4:5], v1, v[4:7], s[8:9] offset:24 th:TH_ATOMIC_RETURN scope:SCOPE_SYS
	s_wait_loadcnt 0x0
	global_inv scope:SCOPE_SYS
	s_wait_xcnt 0x0
	v_cmpx_ne_u64_e64 v[4:5], v[6:7]
	s_cbranch_execz .LBB5_118
; %bb.115:
	s_mov_b32 s12, 0
.LBB5_116:                              ; =>This Inner Loop Header: Depth=1
	s_sleep 1
	s_clause 0x1
	global_load_b64 v[8:9], v1, s[8:9] offset:40
	global_load_b64 v[10:11], v1, s[8:9]
	v_mov_b64_e32 v[6:7], v[4:5]
	s_wait_loadcnt 0x1
	s_delay_alu instid0(VALU_DEP_1) | instskip(NEXT) | instid1(VALU_DEP_2)
	v_and_b32_e32 v4, v8, v6
	v_and_b32_e32 v8, v9, v7
	s_wait_loadcnt 0x0
	s_delay_alu instid0(VALU_DEP_2) | instskip(NEXT) | instid1(VALU_DEP_1)
	v_mad_nc_u64_u32 v[4:5], v4, 24, v[10:11]
	v_mad_u32 v5, v8, 24, v5
	global_load_b64 v[4:5], v[4:5], off scope:SCOPE_SYS
	s_wait_xcnt 0x0
	s_wait_loadcnt 0x0
	global_atomic_cmpswap_b64 v[4:5], v1, v[4:7], s[8:9] offset:24 th:TH_ATOMIC_RETURN scope:SCOPE_SYS
	s_wait_loadcnt 0x0
	global_inv scope:SCOPE_SYS
	v_cmp_eq_u64_e32 vcc_lo, v[4:5], v[6:7]
	s_or_b32 s12, vcc_lo, s12
	s_wait_xcnt 0x0
	s_and_not1_b32 exec_lo, exec_lo, s12
	s_cbranch_execnz .LBB5_116
; %bb.117:
	s_or_b32 exec_lo, exec_lo, s12
.LBB5_118:
	s_delay_alu instid0(SALU_CYCLE_1)
	s_or_b32 exec_lo, exec_lo, s11
.LBB5_119:
	s_delay_alu instid0(SALU_CYCLE_1)
	s_or_b32 exec_lo, exec_lo, s10
	v_readfirstlane_b32 s10, v4
	v_mov_b32_e32 v1, 0
	v_readfirstlane_b32 s11, v5
	s_mov_b32 s12, exec_lo
	s_clause 0x1
	global_load_b64 v[10:11], v1, s[8:9] offset:40
	global_load_b128 v[6:9], v1, s[8:9]
	s_wait_loadcnt 0x1
	v_and_b32_e32 v4, s10, v10
	v_and_b32_e32 v5, s11, v11
	s_delay_alu instid0(VALU_DEP_1) | instskip(SKIP_1) | instid1(VALU_DEP_1)
	v_mul_u64_e32 v[10:11], 24, v[4:5]
	s_wait_loadcnt 0x0
	v_add_nc_u64_e32 v[10:11], v[6:7], v[10:11]
	s_wait_xcnt 0x0
	s_and_saveexec_b32 s13, s3
	s_cbranch_execz .LBB5_121
; %bb.120:
	v_mov_b64_e32 v[14:15], 0x100000002
	v_dual_mov_b32 v12, s12 :: v_dual_mov_b32 v13, v1
	global_store_b128 v[10:11], v[12:15], off offset:8
.LBB5_121:
	s_wait_xcnt 0x0
	s_or_b32 exec_lo, exec_lo, s13
	v_lshlrev_b64_e32 v[4:5], 12, v[4:5]
	s_mov_b32 s12, 0
	v_and_or_b32 v2, 0xffffff1f, v2, 32
	s_mov_b32 s13, s12
	s_mov_b32 s14, s12
	;; [unrolled: 1-line block ×3, first 2 shown]
	v_mov_b64_e32 v[12:13], s[12:13]
	v_add_nc_u64_e32 v[8:9], v[8:9], v[4:5]
	v_mov_b64_e32 v[14:15], s[14:15]
	v_dual_mov_b32 v4, v1 :: v_dual_mov_b32 v5, v1
	s_delay_alu instid0(VALU_DEP_3) | instskip(NEXT) | instid1(VALU_DEP_4)
	v_readfirstlane_b32 s16, v8
	v_readfirstlane_b32 s17, v9
	s_clause 0x3
	global_store_b128 v0, v[2:5], s[16:17]
	global_store_b128 v0, v[12:15], s[16:17] offset:16
	global_store_b128 v0, v[12:15], s[16:17] offset:32
	;; [unrolled: 1-line block ×3, first 2 shown]
	s_wait_xcnt 0x0
	s_and_saveexec_b32 s12, s3
	s_cbranch_execz .LBB5_129
; %bb.122:
	v_dual_mov_b32 v12, 0 :: v_dual_mov_b32 v15, s11
	s_mov_b32 s13, exec_lo
	s_clause 0x1
	global_load_b64 v[16:17], v12, s[8:9] offset:32 scope:SCOPE_SYS
	global_load_b64 v[2:3], v12, s[8:9] offset:40
	s_wait_loadcnt 0x0
	v_dual_mov_b32 v14, s10 :: v_dual_bitop2_b32 v3, s11, v3 bitop3:0x40
	v_and_b32_e32 v2, s10, v2
	s_delay_alu instid0(VALU_DEP_1) | instskip(NEXT) | instid1(VALU_DEP_1)
	v_mul_u64_e32 v[2:3], 24, v[2:3]
	v_add_nc_u64_e32 v[6:7], v[6:7], v[2:3]
	global_store_b64 v[6:7], v[16:17], off
	global_wb scope:SCOPE_SYS
	s_wait_storecnt 0x0
	s_wait_xcnt 0x0
	global_atomic_cmpswap_b64 v[4:5], v12, v[14:17], s[8:9] offset:32 th:TH_ATOMIC_RETURN scope:SCOPE_SYS
	s_wait_loadcnt 0x0
	v_cmpx_ne_u64_e64 v[4:5], v[16:17]
	s_cbranch_execz .LBB5_125
; %bb.123:
	s_mov_b32 s14, 0
.LBB5_124:                              ; =>This Inner Loop Header: Depth=1
	v_dual_mov_b32 v2, s10 :: v_dual_mov_b32 v3, s11
	s_sleep 1
	global_store_b64 v[6:7], v[4:5], off
	global_wb scope:SCOPE_SYS
	s_wait_storecnt 0x0
	s_wait_xcnt 0x0
	global_atomic_cmpswap_b64 v[2:3], v12, v[2:5], s[8:9] offset:32 th:TH_ATOMIC_RETURN scope:SCOPE_SYS
	s_wait_loadcnt 0x0
	v_cmp_eq_u64_e32 vcc_lo, v[2:3], v[4:5]
	v_mov_b64_e32 v[4:5], v[2:3]
	s_or_b32 s14, vcc_lo, s14
	s_delay_alu instid0(SALU_CYCLE_1)
	s_and_not1_b32 exec_lo, exec_lo, s14
	s_cbranch_execnz .LBB5_124
.LBB5_125:
	s_or_b32 exec_lo, exec_lo, s13
	v_mov_b32_e32 v5, 0
	s_mov_b32 s14, exec_lo
	s_mov_b32 s13, exec_lo
	v_mbcnt_lo_u32_b32 v4, s14, 0
	global_load_b64 v[2:3], v5, s[8:9] offset:16
	s_wait_xcnt 0x0
	v_cmpx_eq_u32_e32 0, v4
	s_cbranch_execz .LBB5_127
; %bb.126:
	s_bcnt1_i32_b32 s14, s14
	s_delay_alu instid0(SALU_CYCLE_1)
	v_mov_b32_e32 v4, s14
	global_wb scope:SCOPE_SYS
	s_wait_loadcnt 0x0
	s_wait_storecnt 0x0
	global_atomic_add_u64 v[2:3], v[4:5], off offset:8 scope:SCOPE_SYS
.LBB5_127:
	s_wait_xcnt 0x0
	s_or_b32 exec_lo, exec_lo, s13
	s_wait_loadcnt 0x0
	global_load_b64 v[4:5], v[2:3], off offset:16
	s_wait_loadcnt 0x0
	v_cmp_eq_u64_e32 vcc_lo, 0, v[4:5]
	s_cbranch_vccnz .LBB5_129
; %bb.128:
	global_load_b32 v2, v[2:3], off offset:24
	s_wait_xcnt 0x0
	v_mov_b32_e32 v3, 0
	s_wait_loadcnt 0x0
	v_readfirstlane_b32 s13, v2
	global_wb scope:SCOPE_SYS
	s_wait_storecnt 0x0
	global_store_b64 v[4:5], v[2:3], off scope:SCOPE_SYS
	s_and_b32 m0, s13, 0xffffff
	s_sendmsg sendmsg(MSG_INTERRUPT)
.LBB5_129:
	s_wait_xcnt 0x0
	s_or_b32 exec_lo, exec_lo, s12
	v_add_nc_u64_e32 v[2:3], v[8:9], v[0:1]
	s_branch .LBB5_133
.LBB5_130:                              ;   in Loop: Header=BB5_133 Depth=1
	s_wait_xcnt 0x0
	s_or_b32 exec_lo, exec_lo, s12
	s_delay_alu instid0(VALU_DEP_1)
	v_readfirstlane_b32 s12, v1
	s_cmp_eq_u32 s12, 0
	s_cbranch_scc1 .LBB5_132
; %bb.131:                              ;   in Loop: Header=BB5_133 Depth=1
	s_sleep 1
	s_cbranch_execnz .LBB5_133
	s_branch .LBB5_135
.LBB5_132:
	s_branch .LBB5_135
.LBB5_133:                              ; =>This Inner Loop Header: Depth=1
	v_mov_b32_e32 v1, 1
	s_and_saveexec_b32 s12, s3
	s_cbranch_execz .LBB5_130
; %bb.134:                              ;   in Loop: Header=BB5_133 Depth=1
	global_load_b32 v1, v[10:11], off offset:20 scope:SCOPE_SYS
	s_wait_loadcnt 0x0
	global_inv scope:SCOPE_SYS
	v_and_b32_e32 v1, 1, v1
	s_branch .LBB5_130
.LBB5_135:
	global_load_b64 v[4:5], v[2:3], off
	s_wait_xcnt 0x0
	s_and_saveexec_b32 s12, s3
	s_cbranch_execz .LBB5_139
; %bb.136:
	v_mov_b32_e32 v1, 0
	s_clause 0x2
	global_load_b64 v[2:3], v1, s[8:9] offset:40
	global_load_b64 v[10:11], v1, s[8:9] offset:24 scope:SCOPE_SYS
	global_load_b64 v[6:7], v1, s[8:9]
	s_wait_loadcnt 0x2
	v_readfirstlane_b32 s14, v2
	v_readfirstlane_b32 s15, v3
	s_add_nc_u64 s[16:17], s[14:15], 1
	s_delay_alu instid0(SALU_CYCLE_1) | instskip(NEXT) | instid1(SALU_CYCLE_1)
	s_add_nc_u64 s[10:11], s[16:17], s[10:11]
	s_cmp_eq_u64 s[10:11], 0
	s_cselect_b32 s11, s17, s11
	s_cselect_b32 s10, s16, s10
	v_mov_b32_e32 v9, s11
	s_and_b64 s[14:15], s[10:11], s[14:15]
	v_mov_b32_e32 v8, s10
	s_mul_u64 s[14:15], s[14:15], 24
	s_wait_loadcnt 0x0
	v_add_nc_u64_e32 v[2:3], s[14:15], v[6:7]
	global_store_b64 v[2:3], v[10:11], off
	global_wb scope:SCOPE_SYS
	s_wait_storecnt 0x0
	s_wait_xcnt 0x0
	global_atomic_cmpswap_b64 v[8:9], v1, v[8:11], s[8:9] offset:24 th:TH_ATOMIC_RETURN scope:SCOPE_SYS
	s_wait_loadcnt 0x0
	v_cmp_ne_u64_e32 vcc_lo, v[8:9], v[10:11]
	s_and_b32 exec_lo, exec_lo, vcc_lo
	s_cbranch_execz .LBB5_139
; %bb.137:
	s_mov_b32 s3, 0
.LBB5_138:                              ; =>This Inner Loop Header: Depth=1
	v_dual_mov_b32 v6, s10 :: v_dual_mov_b32 v7, s11
	s_sleep 1
	global_store_b64 v[2:3], v[8:9], off
	global_wb scope:SCOPE_SYS
	s_wait_storecnt 0x0
	s_wait_xcnt 0x0
	global_atomic_cmpswap_b64 v[6:7], v1, v[6:9], s[8:9] offset:24 th:TH_ATOMIC_RETURN scope:SCOPE_SYS
	s_wait_loadcnt 0x0
	v_cmp_eq_u64_e32 vcc_lo, v[6:7], v[8:9]
	v_mov_b64_e32 v[8:9], v[6:7]
	s_or_b32 s3, vcc_lo, s3
	s_delay_alu instid0(SALU_CYCLE_1)
	s_and_not1_b32 exec_lo, exec_lo, s3
	s_cbranch_execnz .LBB5_138
.LBB5_139:
	s_or_b32 exec_lo, exec_lo, s12
.LBB5_140:
	v_readfirstlane_b32 s3, v29
	s_wait_loadcnt 0x0
	v_mov_b64_e32 v[2:3], 0
	s_delay_alu instid0(VALU_DEP_2)
	v_cmp_eq_u32_e64 s3, s3, v29
	s_and_saveexec_b32 s10, s3
	s_cbranch_execz .LBB5_146
; %bb.141:
	v_mov_b32_e32 v1, 0
	s_mov_b32 s11, exec_lo
	global_load_b64 v[8:9], v1, s[8:9] offset:24 scope:SCOPE_SYS
	s_wait_loadcnt 0x0
	global_inv scope:SCOPE_SYS
	s_clause 0x1
	global_load_b64 v[2:3], v1, s[8:9] offset:40
	global_load_b64 v[6:7], v1, s[8:9]
	s_wait_loadcnt 0x1
	v_and_b32_e32 v2, v2, v8
	v_and_b32_e32 v3, v3, v9
	s_delay_alu instid0(VALU_DEP_1) | instskip(SKIP_1) | instid1(VALU_DEP_1)
	v_mul_u64_e32 v[2:3], 24, v[2:3]
	s_wait_loadcnt 0x0
	v_add_nc_u64_e32 v[2:3], v[6:7], v[2:3]
	global_load_b64 v[6:7], v[2:3], off scope:SCOPE_SYS
	s_wait_xcnt 0x0
	s_wait_loadcnt 0x0
	global_atomic_cmpswap_b64 v[2:3], v1, v[6:9], s[8:9] offset:24 th:TH_ATOMIC_RETURN scope:SCOPE_SYS
	s_wait_loadcnt 0x0
	global_inv scope:SCOPE_SYS
	s_wait_xcnt 0x0
	v_cmpx_ne_u64_e64 v[2:3], v[8:9]
	s_cbranch_execz .LBB5_145
; %bb.142:
	s_mov_b32 s12, 0
.LBB5_143:                              ; =>This Inner Loop Header: Depth=1
	s_sleep 1
	s_clause 0x1
	global_load_b64 v[6:7], v1, s[8:9] offset:40
	global_load_b64 v[10:11], v1, s[8:9]
	v_mov_b64_e32 v[8:9], v[2:3]
	s_wait_loadcnt 0x1
	s_delay_alu instid0(VALU_DEP_1) | instskip(NEXT) | instid1(VALU_DEP_2)
	v_and_b32_e32 v2, v6, v8
	v_and_b32_e32 v6, v7, v9
	s_wait_loadcnt 0x0
	s_delay_alu instid0(VALU_DEP_2) | instskip(NEXT) | instid1(VALU_DEP_1)
	v_mad_nc_u64_u32 v[2:3], v2, 24, v[10:11]
	v_mad_u32 v3, v6, 24, v3
	global_load_b64 v[6:7], v[2:3], off scope:SCOPE_SYS
	s_wait_xcnt 0x0
	s_wait_loadcnt 0x0
	global_atomic_cmpswap_b64 v[2:3], v1, v[6:9], s[8:9] offset:24 th:TH_ATOMIC_RETURN scope:SCOPE_SYS
	s_wait_loadcnt 0x0
	global_inv scope:SCOPE_SYS
	v_cmp_eq_u64_e32 vcc_lo, v[2:3], v[8:9]
	s_or_b32 s12, vcc_lo, s12
	s_wait_xcnt 0x0
	s_and_not1_b32 exec_lo, exec_lo, s12
	s_cbranch_execnz .LBB5_143
; %bb.144:
	s_or_b32 exec_lo, exec_lo, s12
.LBB5_145:
	s_delay_alu instid0(SALU_CYCLE_1)
	s_or_b32 exec_lo, exec_lo, s11
.LBB5_146:
	s_delay_alu instid0(SALU_CYCLE_1)
	s_or_b32 exec_lo, exec_lo, s10
	v_readfirstlane_b32 s10, v2
	v_mov_b32_e32 v1, 0
	v_readfirstlane_b32 s11, v3
	s_mov_b32 s12, exec_lo
	s_clause 0x1
	global_load_b64 v[6:7], v1, s[8:9] offset:40
	global_load_b128 v[8:11], v1, s[8:9]
	s_wait_loadcnt 0x1
	v_and_b32_e32 v2, s10, v6
	v_and_b32_e32 v3, s11, v7
	s_delay_alu instid0(VALU_DEP_1) | instskip(SKIP_1) | instid1(VALU_DEP_1)
	v_mul_u64_e32 v[6:7], 24, v[2:3]
	s_wait_loadcnt 0x0
	v_add_nc_u64_e32 v[12:13], v[8:9], v[6:7]
	s_wait_xcnt 0x0
	s_and_saveexec_b32 s13, s3
	s_cbranch_execz .LBB5_148
; %bb.147:
	v_mov_b64_e32 v[16:17], 0x100000002
	v_dual_mov_b32 v14, s12 :: v_dual_mov_b32 v15, v1
	global_store_b128 v[12:13], v[14:17], off offset:8
.LBB5_148:
	s_wait_xcnt 0x0
	s_or_b32 exec_lo, exec_lo, s13
	v_lshlrev_b64_e32 v[2:3], 12, v[2:3]
	s_mov_b32 s16, 0
	s_add_co_i32 s12, s22, -1
	s_mov_b32 s17, s16
	s_mov_b32 s18, s16
	;; [unrolled: 1-line block ×3, first 2 shown]
	v_mov_b64_e32 v[14:15], s[16:17]
	v_add_nc_u64_e32 v[10:11], v[10:11], v[2:3]
	v_mov_b64_e32 v[16:17], s[18:19]
	v_and_or_b32 v4, 0xffffff1f, v4, 32
	v_dual_mov_b32 v7, v1 :: v_dual_mov_b32 v6, s12
	s_delay_alu instid0(VALU_DEP_4)
	v_readfirstlane_b32 s14, v10
	v_readfirstlane_b32 s15, v11
	s_clause 0x3
	global_store_b128 v0, v[4:7], s[14:15]
	global_store_b128 v0, v[14:17], s[14:15] offset:16
	global_store_b128 v0, v[14:17], s[14:15] offset:32
	;; [unrolled: 1-line block ×3, first 2 shown]
	s_wait_xcnt 0x0
	s_and_saveexec_b32 s13, s3
	s_cbranch_execz .LBB5_156
; %bb.149:
	v_dual_mov_b32 v14, 0 :: v_dual_mov_b32 v17, s11
	s_mov_b32 s14, exec_lo
	s_clause 0x1
	global_load_b64 v[18:19], v14, s[8:9] offset:32 scope:SCOPE_SYS
	global_load_b64 v[2:3], v14, s[8:9] offset:40
	s_wait_loadcnt 0x0
	v_dual_mov_b32 v16, s10 :: v_dual_bitop2_b32 v3, s11, v3 bitop3:0x40
	v_and_b32_e32 v2, s10, v2
	s_delay_alu instid0(VALU_DEP_1) | instskip(NEXT) | instid1(VALU_DEP_1)
	v_mul_u64_e32 v[2:3], 24, v[2:3]
	v_add_nc_u64_e32 v[6:7], v[8:9], v[2:3]
	global_store_b64 v[6:7], v[18:19], off
	global_wb scope:SCOPE_SYS
	s_wait_storecnt 0x0
	s_wait_xcnt 0x0
	global_atomic_cmpswap_b64 v[4:5], v14, v[16:19], s[8:9] offset:32 th:TH_ATOMIC_RETURN scope:SCOPE_SYS
	s_wait_loadcnt 0x0
	v_cmpx_ne_u64_e64 v[4:5], v[18:19]
	s_cbranch_execz .LBB5_152
; %bb.150:
	s_mov_b32 s15, 0
.LBB5_151:                              ; =>This Inner Loop Header: Depth=1
	v_dual_mov_b32 v2, s10 :: v_dual_mov_b32 v3, s11
	s_sleep 1
	global_store_b64 v[6:7], v[4:5], off
	global_wb scope:SCOPE_SYS
	s_wait_storecnt 0x0
	s_wait_xcnt 0x0
	global_atomic_cmpswap_b64 v[2:3], v14, v[2:5], s[8:9] offset:32 th:TH_ATOMIC_RETURN scope:SCOPE_SYS
	s_wait_loadcnt 0x0
	v_cmp_eq_u64_e32 vcc_lo, v[2:3], v[4:5]
	v_mov_b64_e32 v[4:5], v[2:3]
	s_or_b32 s15, vcc_lo, s15
	s_delay_alu instid0(SALU_CYCLE_1)
	s_and_not1_b32 exec_lo, exec_lo, s15
	s_cbranch_execnz .LBB5_151
.LBB5_152:
	s_or_b32 exec_lo, exec_lo, s14
	v_mov_b32_e32 v5, 0
	s_mov_b32 s15, exec_lo
	s_mov_b32 s14, exec_lo
	v_mbcnt_lo_u32_b32 v4, s15, 0
	global_load_b64 v[2:3], v5, s[8:9] offset:16
	s_wait_xcnt 0x0
	v_cmpx_eq_u32_e32 0, v4
	s_cbranch_execz .LBB5_154
; %bb.153:
	s_bcnt1_i32_b32 s15, s15
	s_delay_alu instid0(SALU_CYCLE_1)
	v_mov_b32_e32 v4, s15
	global_wb scope:SCOPE_SYS
	s_wait_loadcnt 0x0
	s_wait_storecnt 0x0
	global_atomic_add_u64 v[2:3], v[4:5], off offset:8 scope:SCOPE_SYS
.LBB5_154:
	s_wait_xcnt 0x0
	s_or_b32 exec_lo, exec_lo, s14
	s_wait_loadcnt 0x0
	global_load_b64 v[4:5], v[2:3], off offset:16
	s_wait_loadcnt 0x0
	v_cmp_eq_u64_e32 vcc_lo, 0, v[4:5]
	s_cbranch_vccnz .LBB5_156
; %bb.155:
	global_load_b32 v2, v[2:3], off offset:24
	s_wait_xcnt 0x0
	v_mov_b32_e32 v3, 0
	s_wait_loadcnt 0x0
	v_readfirstlane_b32 s14, v2
	global_wb scope:SCOPE_SYS
	s_wait_storecnt 0x0
	global_store_b64 v[4:5], v[2:3], off scope:SCOPE_SYS
	s_and_b32 m0, s14, 0xffffff
	s_sendmsg sendmsg(MSG_INTERRUPT)
.LBB5_156:
	s_wait_xcnt 0x0
	s_or_b32 exec_lo, exec_lo, s13
	v_add_nc_u64_e32 v[2:3], v[10:11], v[0:1]
	s_branch .LBB5_160
.LBB5_157:                              ;   in Loop: Header=BB5_160 Depth=1
	s_wait_xcnt 0x0
	s_or_b32 exec_lo, exec_lo, s13
	s_delay_alu instid0(VALU_DEP_1)
	v_readfirstlane_b32 s13, v1
	s_cmp_eq_u32 s13, 0
	s_cbranch_scc1 .LBB5_159
; %bb.158:                              ;   in Loop: Header=BB5_160 Depth=1
	s_sleep 1
	s_cbranch_execnz .LBB5_160
	s_branch .LBB5_162
.LBB5_159:
	s_branch .LBB5_162
.LBB5_160:                              ; =>This Inner Loop Header: Depth=1
	v_mov_b32_e32 v1, 1
	s_and_saveexec_b32 s13, s3
	s_cbranch_execz .LBB5_157
; %bb.161:                              ;   in Loop: Header=BB5_160 Depth=1
	global_load_b32 v1, v[12:13], off offset:20 scope:SCOPE_SYS
	s_wait_loadcnt 0x0
	global_inv scope:SCOPE_SYS
	v_and_b32_e32 v1, 1, v1
	s_branch .LBB5_157
.LBB5_162:
	global_load_b64 v[2:3], v[2:3], off
	s_wait_xcnt 0x0
	s_and_saveexec_b32 s13, s3
	s_cbranch_execz .LBB5_166
; %bb.163:
	v_mov_b32_e32 v1, 0
	s_clause 0x2
	global_load_b64 v[4:5], v1, s[8:9] offset:40
	global_load_b64 v[12:13], v1, s[8:9] offset:24 scope:SCOPE_SYS
	global_load_b64 v[6:7], v1, s[8:9]
	s_wait_loadcnt 0x2
	v_readfirstlane_b32 s14, v4
	v_readfirstlane_b32 s15, v5
	s_add_nc_u64 s[16:17], s[14:15], 1
	s_delay_alu instid0(SALU_CYCLE_1) | instskip(NEXT) | instid1(SALU_CYCLE_1)
	s_add_nc_u64 s[10:11], s[16:17], s[10:11]
	s_cmp_eq_u64 s[10:11], 0
	s_cselect_b32 s11, s17, s11
	s_cselect_b32 s10, s16, s10
	v_mov_b32_e32 v11, s11
	s_and_b64 s[14:15], s[10:11], s[14:15]
	v_mov_b32_e32 v10, s10
	s_mul_u64 s[14:15], s[14:15], 24
	s_wait_loadcnt 0x0
	v_add_nc_u64_e32 v[8:9], s[14:15], v[6:7]
	global_store_b64 v[8:9], v[12:13], off
	global_wb scope:SCOPE_SYS
	s_wait_storecnt 0x0
	s_wait_xcnt 0x0
	global_atomic_cmpswap_b64 v[6:7], v1, v[10:13], s[8:9] offset:24 th:TH_ATOMIC_RETURN scope:SCOPE_SYS
	s_wait_loadcnt 0x0
	v_cmp_ne_u64_e32 vcc_lo, v[6:7], v[12:13]
	s_and_b32 exec_lo, exec_lo, vcc_lo
	s_cbranch_execz .LBB5_166
; %bb.164:
	s_mov_b32 s3, 0
.LBB5_165:                              ; =>This Inner Loop Header: Depth=1
	v_dual_mov_b32 v4, s10 :: v_dual_mov_b32 v5, s11
	s_sleep 1
	global_store_b64 v[8:9], v[6:7], off
	global_wb scope:SCOPE_SYS
	s_wait_storecnt 0x0
	s_wait_xcnt 0x0
	global_atomic_cmpswap_b64 v[4:5], v1, v[4:7], s[8:9] offset:24 th:TH_ATOMIC_RETURN scope:SCOPE_SYS
	s_wait_loadcnt 0x0
	v_cmp_eq_u64_e32 vcc_lo, v[4:5], v[6:7]
	v_mov_b64_e32 v[6:7], v[4:5]
	s_or_b32 s3, vcc_lo, s3
	s_delay_alu instid0(SALU_CYCLE_1)
	s_and_not1_b32 exec_lo, exec_lo, s3
	s_cbranch_execnz .LBB5_165
.LBB5_166:
	s_or_b32 exec_lo, exec_lo, s13
	v_readfirstlane_b32 s3, v29
	v_mov_b64_e32 v[4:5], 0
	s_delay_alu instid0(VALU_DEP_2)
	v_cmp_eq_u32_e64 s3, s3, v29
	s_and_saveexec_b32 s10, s3
	s_cbranch_execz .LBB5_172
; %bb.167:
	v_mov_b32_e32 v1, 0
	s_mov_b32 s11, exec_lo
	global_load_b64 v[6:7], v1, s[8:9] offset:24 scope:SCOPE_SYS
	s_wait_loadcnt 0x0
	global_inv scope:SCOPE_SYS
	s_clause 0x1
	global_load_b64 v[4:5], v1, s[8:9] offset:40
	global_load_b64 v[8:9], v1, s[8:9]
	s_wait_loadcnt 0x1
	v_and_b32_e32 v4, v4, v6
	v_and_b32_e32 v5, v5, v7
	s_delay_alu instid0(VALU_DEP_1) | instskip(SKIP_1) | instid1(VALU_DEP_1)
	v_mul_u64_e32 v[4:5], 24, v[4:5]
	s_wait_loadcnt 0x0
	v_add_nc_u64_e32 v[4:5], v[8:9], v[4:5]
	global_load_b64 v[4:5], v[4:5], off scope:SCOPE_SYS
	s_wait_xcnt 0x0
	s_wait_loadcnt 0x0
	global_atomic_cmpswap_b64 v[4:5], v1, v[4:7], s[8:9] offset:24 th:TH_ATOMIC_RETURN scope:SCOPE_SYS
	s_wait_loadcnt 0x0
	global_inv scope:SCOPE_SYS
	s_wait_xcnt 0x0
	v_cmpx_ne_u64_e64 v[4:5], v[6:7]
	s_cbranch_execz .LBB5_171
; %bb.168:
	s_mov_b32 s13, 0
.LBB5_169:                              ; =>This Inner Loop Header: Depth=1
	s_sleep 1
	s_clause 0x1
	global_load_b64 v[8:9], v1, s[8:9] offset:40
	global_load_b64 v[10:11], v1, s[8:9]
	v_mov_b64_e32 v[6:7], v[4:5]
	s_wait_loadcnt 0x1
	s_delay_alu instid0(VALU_DEP_1) | instskip(NEXT) | instid1(VALU_DEP_2)
	v_and_b32_e32 v4, v8, v6
	v_and_b32_e32 v8, v9, v7
	s_wait_loadcnt 0x0
	s_delay_alu instid0(VALU_DEP_2) | instskip(NEXT) | instid1(VALU_DEP_1)
	v_mad_nc_u64_u32 v[4:5], v4, 24, v[10:11]
	v_mad_u32 v5, v8, 24, v5
	global_load_b64 v[4:5], v[4:5], off scope:SCOPE_SYS
	s_wait_xcnt 0x0
	s_wait_loadcnt 0x0
	global_atomic_cmpswap_b64 v[4:5], v1, v[4:7], s[8:9] offset:24 th:TH_ATOMIC_RETURN scope:SCOPE_SYS
	s_wait_loadcnt 0x0
	global_inv scope:SCOPE_SYS
	v_cmp_eq_u64_e32 vcc_lo, v[4:5], v[6:7]
	s_or_b32 s13, vcc_lo, s13
	s_wait_xcnt 0x0
	s_and_not1_b32 exec_lo, exec_lo, s13
	s_cbranch_execnz .LBB5_169
; %bb.170:
	s_or_b32 exec_lo, exec_lo, s13
.LBB5_171:
	s_delay_alu instid0(SALU_CYCLE_1)
	s_or_b32 exec_lo, exec_lo, s11
.LBB5_172:
	s_delay_alu instid0(SALU_CYCLE_1)
	s_or_b32 exec_lo, exec_lo, s10
	v_readfirstlane_b32 s10, v4
	v_mov_b32_e32 v1, 0
	v_readfirstlane_b32 s11, v5
	s_mov_b32 s13, exec_lo
	s_clause 0x1
	global_load_b64 v[10:11], v1, s[8:9] offset:40
	global_load_b128 v[6:9], v1, s[8:9]
	s_wait_loadcnt 0x1
	v_and_b32_e32 v4, s10, v10
	v_and_b32_e32 v5, s11, v11
	s_delay_alu instid0(VALU_DEP_1) | instskip(SKIP_1) | instid1(VALU_DEP_1)
	v_mul_u64_e32 v[10:11], 24, v[4:5]
	s_wait_loadcnt 0x0
	v_add_nc_u64_e32 v[10:11], v[6:7], v[10:11]
	s_wait_xcnt 0x0
	s_and_saveexec_b32 s14, s3
	s_cbranch_execz .LBB5_174
; %bb.173:
	v_mov_b64_e32 v[14:15], 0x100000002
	v_dual_mov_b32 v12, s13 :: v_dual_mov_b32 v13, v1
	global_store_b128 v[10:11], v[12:15], off offset:8
.LBB5_174:
	s_wait_xcnt 0x0
	s_or_b32 exec_lo, exec_lo, s14
	v_lshlrev_b64_e32 v[12:13], 12, v[4:5]
	s_mov_b32 s16, 0
	v_dual_cndmask_b32 v4, -1, v31, s2 :: v_dual_mov_b32 v5, v1
	s_mov_b32 s17, s16
	s_mov_b32 s18, s16
	;; [unrolled: 1-line block ×3, first 2 shown]
	s_delay_alu instid0(VALU_DEP_2) | instskip(SKIP_3) | instid1(VALU_DEP_4)
	v_add_nc_u64_e32 v[8:9], v[8:9], v[12:13]
	v_mov_b64_e32 v[12:13], s[16:17]
	v_mov_b64_e32 v[14:15], s[18:19]
	v_and_or_b32 v2, 0xffffff1f, v2, 32
	v_readfirstlane_b32 s14, v8
	v_readfirstlane_b32 s15, v9
	s_clause 0x3
	global_store_b128 v0, v[2:5], s[14:15]
	global_store_b128 v0, v[12:15], s[14:15] offset:16
	global_store_b128 v0, v[12:15], s[14:15] offset:32
	;; [unrolled: 1-line block ×3, first 2 shown]
	s_wait_xcnt 0x0
	s_and_saveexec_b32 s2, s3
	s_cbranch_execz .LBB5_182
; %bb.175:
	v_dual_mov_b32 v12, 0 :: v_dual_mov_b32 v15, s11
	s_mov_b32 s13, exec_lo
	s_clause 0x1
	global_load_b64 v[16:17], v12, s[8:9] offset:32 scope:SCOPE_SYS
	global_load_b64 v[2:3], v12, s[8:9] offset:40
	s_wait_loadcnt 0x0
	v_dual_mov_b32 v14, s10 :: v_dual_bitop2_b32 v3, s11, v3 bitop3:0x40
	v_and_b32_e32 v2, s10, v2
	s_delay_alu instid0(VALU_DEP_1) | instskip(NEXT) | instid1(VALU_DEP_1)
	v_mul_u64_e32 v[2:3], 24, v[2:3]
	v_add_nc_u64_e32 v[6:7], v[6:7], v[2:3]
	global_store_b64 v[6:7], v[16:17], off
	global_wb scope:SCOPE_SYS
	s_wait_storecnt 0x0
	s_wait_xcnt 0x0
	global_atomic_cmpswap_b64 v[4:5], v12, v[14:17], s[8:9] offset:32 th:TH_ATOMIC_RETURN scope:SCOPE_SYS
	s_wait_loadcnt 0x0
	v_cmpx_ne_u64_e64 v[4:5], v[16:17]
	s_cbranch_execz .LBB5_178
; %bb.176:
	s_mov_b32 s14, 0
.LBB5_177:                              ; =>This Inner Loop Header: Depth=1
	v_dual_mov_b32 v2, s10 :: v_dual_mov_b32 v3, s11
	s_sleep 1
	global_store_b64 v[6:7], v[4:5], off
	global_wb scope:SCOPE_SYS
	s_wait_storecnt 0x0
	s_wait_xcnt 0x0
	global_atomic_cmpswap_b64 v[2:3], v12, v[2:5], s[8:9] offset:32 th:TH_ATOMIC_RETURN scope:SCOPE_SYS
	s_wait_loadcnt 0x0
	v_cmp_eq_u64_e32 vcc_lo, v[2:3], v[4:5]
	v_mov_b64_e32 v[4:5], v[2:3]
	s_or_b32 s14, vcc_lo, s14
	s_delay_alu instid0(SALU_CYCLE_1)
	s_and_not1_b32 exec_lo, exec_lo, s14
	s_cbranch_execnz .LBB5_177
.LBB5_178:
	s_or_b32 exec_lo, exec_lo, s13
	v_mov_b32_e32 v5, 0
	s_mov_b32 s14, exec_lo
	s_mov_b32 s13, exec_lo
	v_mbcnt_lo_u32_b32 v4, s14, 0
	global_load_b64 v[2:3], v5, s[8:9] offset:16
	s_wait_xcnt 0x0
	v_cmpx_eq_u32_e32 0, v4
	s_cbranch_execz .LBB5_180
; %bb.179:
	s_bcnt1_i32_b32 s14, s14
	s_delay_alu instid0(SALU_CYCLE_1)
	v_mov_b32_e32 v4, s14
	global_wb scope:SCOPE_SYS
	s_wait_loadcnt 0x0
	s_wait_storecnt 0x0
	global_atomic_add_u64 v[2:3], v[4:5], off offset:8 scope:SCOPE_SYS
.LBB5_180:
	s_wait_xcnt 0x0
	s_or_b32 exec_lo, exec_lo, s13
	s_wait_loadcnt 0x0
	global_load_b64 v[4:5], v[2:3], off offset:16
	s_wait_loadcnt 0x0
	v_cmp_eq_u64_e32 vcc_lo, 0, v[4:5]
	s_cbranch_vccnz .LBB5_182
; %bb.181:
	global_load_b32 v2, v[2:3], off offset:24
	s_wait_xcnt 0x0
	v_mov_b32_e32 v3, 0
	s_wait_loadcnt 0x0
	v_readfirstlane_b32 s13, v2
	global_wb scope:SCOPE_SYS
	s_wait_storecnt 0x0
	global_store_b64 v[4:5], v[2:3], off scope:SCOPE_SYS
	s_and_b32 m0, s13, 0xffffff
	s_sendmsg sendmsg(MSG_INTERRUPT)
.LBB5_182:
	s_wait_xcnt 0x0
	s_or_b32 exec_lo, exec_lo, s2
	v_add_nc_u64_e32 v[2:3], v[8:9], v[0:1]
	s_branch .LBB5_186
.LBB5_183:                              ;   in Loop: Header=BB5_186 Depth=1
	s_wait_xcnt 0x0
	s_or_b32 exec_lo, exec_lo, s2
	s_delay_alu instid0(VALU_DEP_1)
	v_readfirstlane_b32 s2, v1
	s_cmp_eq_u32 s2, 0
	s_cbranch_scc1 .LBB5_185
; %bb.184:                              ;   in Loop: Header=BB5_186 Depth=1
	s_sleep 1
	s_cbranch_execnz .LBB5_186
	s_branch .LBB5_188
.LBB5_185:
	s_branch .LBB5_188
.LBB5_186:                              ; =>This Inner Loop Header: Depth=1
	v_mov_b32_e32 v1, 1
	s_and_saveexec_b32 s2, s3
	s_cbranch_execz .LBB5_183
; %bb.187:                              ;   in Loop: Header=BB5_186 Depth=1
	global_load_b32 v1, v[10:11], off offset:20 scope:SCOPE_SYS
	s_wait_loadcnt 0x0
	global_inv scope:SCOPE_SYS
	v_and_b32_e32 v1, 1, v1
	s_branch .LBB5_183
.LBB5_188:
	global_load_b64 v[2:3], v[2:3], off
	s_wait_xcnt 0x0
	s_and_saveexec_b32 s13, s3
	s_cbranch_execz .LBB5_192
; %bb.189:
	v_mov_b32_e32 v1, 0
	s_clause 0x2
	global_load_b64 v[4:5], v1, s[8:9] offset:40
	global_load_b64 v[12:13], v1, s[8:9] offset:24 scope:SCOPE_SYS
	global_load_b64 v[6:7], v1, s[8:9]
	s_wait_loadcnt 0x2
	v_readfirstlane_b32 s14, v4
	v_readfirstlane_b32 s15, v5
	s_add_nc_u64 s[2:3], s[14:15], 1
	s_delay_alu instid0(SALU_CYCLE_1) | instskip(NEXT) | instid1(SALU_CYCLE_1)
	s_add_nc_u64 s[10:11], s[2:3], s[10:11]
	s_cmp_eq_u64 s[10:11], 0
	s_cselect_b32 s3, s3, s11
	s_cselect_b32 s2, s2, s10
	v_mov_b32_e32 v11, s3
	s_and_b64 s[10:11], s[2:3], s[14:15]
	v_mov_b32_e32 v10, s2
	s_mul_u64 s[10:11], s[10:11], 24
	s_wait_loadcnt 0x0
	v_add_nc_u64_e32 v[8:9], s[10:11], v[6:7]
	global_store_b64 v[8:9], v[12:13], off
	global_wb scope:SCOPE_SYS
	s_wait_storecnt 0x0
	s_wait_xcnt 0x0
	global_atomic_cmpswap_b64 v[6:7], v1, v[10:13], s[8:9] offset:24 th:TH_ATOMIC_RETURN scope:SCOPE_SYS
	s_wait_loadcnt 0x0
	v_cmp_ne_u64_e32 vcc_lo, v[6:7], v[12:13]
	s_and_b32 exec_lo, exec_lo, vcc_lo
	s_cbranch_execz .LBB5_192
; %bb.190:
	s_mov_b32 s10, 0
.LBB5_191:                              ; =>This Inner Loop Header: Depth=1
	v_dual_mov_b32 v4, s2 :: v_dual_mov_b32 v5, s3
	s_sleep 1
	global_store_b64 v[8:9], v[6:7], off
	global_wb scope:SCOPE_SYS
	s_wait_storecnt 0x0
	s_wait_xcnt 0x0
	global_atomic_cmpswap_b64 v[4:5], v1, v[4:7], s[8:9] offset:24 th:TH_ATOMIC_RETURN scope:SCOPE_SYS
	s_wait_loadcnt 0x0
	v_cmp_eq_u64_e32 vcc_lo, v[4:5], v[6:7]
	v_mov_b64_e32 v[6:7], v[4:5]
	s_or_b32 s10, vcc_lo, s10
	s_delay_alu instid0(SALU_CYCLE_1)
	s_and_not1_b32 exec_lo, exec_lo, s10
	s_cbranch_execnz .LBB5_191
.LBB5_192:
	s_or_b32 exec_lo, exec_lo, s13
	v_readfirstlane_b32 s2, v29
	v_mov_b64_e32 v[10:11], 0
	s_delay_alu instid0(VALU_DEP_2)
	v_cmp_eq_u32_e64 s2, s2, v29
	s_and_saveexec_b32 s3, s2
	s_cbranch_execz .LBB5_198
; %bb.193:
	v_mov_b32_e32 v1, 0
	s_mov_b32 s10, exec_lo
	global_load_b64 v[6:7], v1, s[8:9] offset:24 scope:SCOPE_SYS
	s_wait_loadcnt 0x0
	global_inv scope:SCOPE_SYS
	s_clause 0x1
	global_load_b64 v[4:5], v1, s[8:9] offset:40
	global_load_b64 v[8:9], v1, s[8:9]
	s_wait_loadcnt 0x1
	v_and_b32_e32 v4, v4, v6
	v_and_b32_e32 v5, v5, v7
	s_delay_alu instid0(VALU_DEP_1) | instskip(SKIP_1) | instid1(VALU_DEP_1)
	v_mul_u64_e32 v[4:5], 24, v[4:5]
	s_wait_loadcnt 0x0
	v_add_nc_u64_e32 v[4:5], v[8:9], v[4:5]
	global_load_b64 v[4:5], v[4:5], off scope:SCOPE_SYS
	s_wait_xcnt 0x0
	s_wait_loadcnt 0x0
	global_atomic_cmpswap_b64 v[10:11], v1, v[4:7], s[8:9] offset:24 th:TH_ATOMIC_RETURN scope:SCOPE_SYS
	s_wait_loadcnt 0x0
	global_inv scope:SCOPE_SYS
	s_wait_xcnt 0x0
	v_cmpx_ne_u64_e64 v[10:11], v[6:7]
	s_cbranch_execz .LBB5_197
; %bb.194:
	s_mov_b32 s11, 0
.LBB5_195:                              ; =>This Inner Loop Header: Depth=1
	s_sleep 1
	s_clause 0x1
	global_load_b64 v[4:5], v1, s[8:9] offset:40
	global_load_b64 v[8:9], v1, s[8:9]
	v_mov_b64_e32 v[6:7], v[10:11]
	s_wait_loadcnt 0x1
	s_delay_alu instid0(VALU_DEP_1) | instskip(SKIP_1) | instid1(VALU_DEP_1)
	v_and_b32_e32 v4, v4, v6
	s_wait_loadcnt 0x0
	v_mad_nc_u64_u32 v[8:9], v4, 24, v[8:9]
	s_delay_alu instid0(VALU_DEP_3) | instskip(NEXT) | instid1(VALU_DEP_1)
	v_and_b32_e32 v4, v5, v7
	v_mad_u32 v9, v4, 24, v9
	global_load_b64 v[4:5], v[8:9], off scope:SCOPE_SYS
	s_wait_xcnt 0x0
	s_wait_loadcnt 0x0
	global_atomic_cmpswap_b64 v[10:11], v1, v[4:7], s[8:9] offset:24 th:TH_ATOMIC_RETURN scope:SCOPE_SYS
	s_wait_loadcnt 0x0
	global_inv scope:SCOPE_SYS
	v_cmp_eq_u64_e32 vcc_lo, v[10:11], v[6:7]
	s_or_b32 s11, vcc_lo, s11
	s_wait_xcnt 0x0
	s_and_not1_b32 exec_lo, exec_lo, s11
	s_cbranch_execnz .LBB5_195
; %bb.196:
	s_or_b32 exec_lo, exec_lo, s11
.LBB5_197:
	s_delay_alu instid0(SALU_CYCLE_1)
	s_or_b32 exec_lo, exec_lo, s10
.LBB5_198:
	s_delay_alu instid0(SALU_CYCLE_1)
	s_or_b32 exec_lo, exec_lo, s3
	v_readfirstlane_b32 s10, v10
	v_mov_b32_e32 v5, 0
	v_readfirstlane_b32 s11, v11
	s_mov_b32 s3, exec_lo
	s_clause 0x1
	global_load_b64 v[12:13], v5, s[8:9] offset:40
	global_load_b128 v[6:9], v5, s[8:9]
	s_wait_loadcnt 0x1
	v_and_b32_e32 v12, s10, v12
	v_and_b32_e32 v13, s11, v13
	s_delay_alu instid0(VALU_DEP_1) | instskip(SKIP_1) | instid1(VALU_DEP_1)
	v_mul_u64_e32 v[10:11], 24, v[12:13]
	s_wait_loadcnt 0x0
	v_add_nc_u64_e32 v[10:11], v[6:7], v[10:11]
	s_wait_xcnt 0x0
	s_and_saveexec_b32 s13, s2
	s_cbranch_execz .LBB5_200
; %bb.199:
	v_mov_b32_e32 v4, s3
	v_mov_b64_e32 v[16:17], 0x100000002
	s_delay_alu instid0(VALU_DEP_2)
	v_mov_b64_e32 v[14:15], v[4:5]
	global_store_b128 v[10:11], v[14:17], off offset:8
.LBB5_200:
	s_wait_xcnt 0x0
	s_or_b32 exec_lo, exec_lo, s13
	v_lshlrev_b64_e32 v[12:13], 12, v[12:13]
	s_mul_i32 s3, s12, s22
	s_mov_b32 s12, 0
	s_lshr_b32 s3, s3, 1
	s_mov_b32 s13, s12
	s_mov_b32 s14, s12
	;; [unrolled: 1-line block ×3, first 2 shown]
	v_add_nc_u64_e32 v[8:9], v[8:9], v[12:13]
	v_mov_b64_e32 v[12:13], s[12:13]
	v_mov_b64_e32 v[14:15], s[14:15]
	v_and_or_b32 v2, 0xffffff1d, v2, 34
	v_mov_b32_e32 v4, s3
	v_readfirstlane_b32 s16, v8
	v_readfirstlane_b32 s17, v9
	s_clause 0x3
	global_store_b128 v0, v[2:5], s[16:17]
	global_store_b128 v0, v[12:15], s[16:17] offset:16
	global_store_b128 v0, v[12:15], s[16:17] offset:32
	;; [unrolled: 1-line block ×3, first 2 shown]
	s_wait_xcnt 0x0
	s_and_saveexec_b32 s3, s2
	s_cbranch_execz .LBB5_208
; %bb.201:
	v_dual_mov_b32 v1, 0 :: v_dual_mov_b32 v13, s11
	s_mov_b32 s12, exec_lo
	s_clause 0x1
	global_load_b64 v[14:15], v1, s[8:9] offset:32 scope:SCOPE_SYS
	global_load_b64 v[2:3], v1, s[8:9] offset:40
	s_wait_loadcnt 0x0
	v_dual_mov_b32 v12, s10 :: v_dual_bitop2_b32 v3, s11, v3 bitop3:0x40
	v_and_b32_e32 v2, s10, v2
	s_delay_alu instid0(VALU_DEP_1) | instskip(NEXT) | instid1(VALU_DEP_1)
	v_mul_u64_e32 v[2:3], 24, v[2:3]
	v_add_nc_u64_e32 v[6:7], v[6:7], v[2:3]
	global_store_b64 v[6:7], v[14:15], off
	global_wb scope:SCOPE_SYS
	s_wait_storecnt 0x0
	s_wait_xcnt 0x0
	global_atomic_cmpswap_b64 v[4:5], v1, v[12:15], s[8:9] offset:32 th:TH_ATOMIC_RETURN scope:SCOPE_SYS
	s_wait_loadcnt 0x0
	v_cmpx_ne_u64_e64 v[4:5], v[14:15]
	s_cbranch_execz .LBB5_204
; %bb.202:
	s_mov_b32 s13, 0
.LBB5_203:                              ; =>This Inner Loop Header: Depth=1
	v_dual_mov_b32 v2, s10 :: v_dual_mov_b32 v3, s11
	s_sleep 1
	global_store_b64 v[6:7], v[4:5], off
	global_wb scope:SCOPE_SYS
	s_wait_storecnt 0x0
	s_wait_xcnt 0x0
	global_atomic_cmpswap_b64 v[2:3], v1, v[2:5], s[8:9] offset:32 th:TH_ATOMIC_RETURN scope:SCOPE_SYS
	s_wait_loadcnt 0x0
	v_cmp_eq_u64_e32 vcc_lo, v[2:3], v[4:5]
	v_mov_b64_e32 v[4:5], v[2:3]
	s_or_b32 s13, vcc_lo, s13
	s_delay_alu instid0(SALU_CYCLE_1)
	s_and_not1_b32 exec_lo, exec_lo, s13
	s_cbranch_execnz .LBB5_203
.LBB5_204:
	s_or_b32 exec_lo, exec_lo, s12
	v_mov_b32_e32 v5, 0
	s_mov_b32 s13, exec_lo
	s_mov_b32 s12, exec_lo
	v_mbcnt_lo_u32_b32 v1, s13, 0
	global_load_b64 v[2:3], v5, s[8:9] offset:16
	s_wait_xcnt 0x0
	v_cmpx_eq_u32_e32 0, v1
	s_cbranch_execz .LBB5_206
; %bb.205:
	s_bcnt1_i32_b32 s13, s13
	s_delay_alu instid0(SALU_CYCLE_1)
	v_mov_b32_e32 v4, s13
	global_wb scope:SCOPE_SYS
	s_wait_loadcnt 0x0
	s_wait_storecnt 0x0
	global_atomic_add_u64 v[2:3], v[4:5], off offset:8 scope:SCOPE_SYS
.LBB5_206:
	s_wait_xcnt 0x0
	s_or_b32 exec_lo, exec_lo, s12
	s_wait_loadcnt 0x0
	global_load_b64 v[4:5], v[2:3], off offset:16
	s_wait_loadcnt 0x0
	v_cmp_eq_u64_e32 vcc_lo, 0, v[4:5]
	s_cbranch_vccnz .LBB5_208
; %bb.207:
	global_load_b32 v2, v[2:3], off offset:24
	s_wait_xcnt 0x0
	v_mov_b32_e32 v3, 0
	s_wait_loadcnt 0x0
	v_readfirstlane_b32 s12, v2
	global_wb scope:SCOPE_SYS
	s_wait_storecnt 0x0
	global_store_b64 v[4:5], v[2:3], off scope:SCOPE_SYS
	s_and_b32 m0, s12, 0xffffff
	s_sendmsg sendmsg(MSG_INTERRUPT)
.LBB5_208:
	s_wait_xcnt 0x0
	s_or_b32 exec_lo, exec_lo, s3
	s_branch .LBB5_212
.LBB5_209:                              ;   in Loop: Header=BB5_212 Depth=1
	s_wait_xcnt 0x0
	s_or_b32 exec_lo, exec_lo, s3
	s_delay_alu instid0(VALU_DEP_1)
	v_readfirstlane_b32 s3, v1
	s_cmp_eq_u32 s3, 0
	s_cbranch_scc1 .LBB5_211
; %bb.210:                              ;   in Loop: Header=BB5_212 Depth=1
	s_sleep 1
	s_cbranch_execnz .LBB5_212
	s_branch .LBB5_214
.LBB5_211:
	s_branch .LBB5_214
.LBB5_212:                              ; =>This Inner Loop Header: Depth=1
	v_mov_b32_e32 v1, 1
	s_and_saveexec_b32 s3, s2
	s_cbranch_execz .LBB5_209
; %bb.213:                              ;   in Loop: Header=BB5_212 Depth=1
	global_load_b32 v1, v[10:11], off offset:20 scope:SCOPE_SYS
	s_wait_loadcnt 0x0
	global_inv scope:SCOPE_SYS
	v_and_b32_e32 v1, 1, v1
	s_branch .LBB5_209
.LBB5_214:
	s_and_saveexec_b32 s12, s2
	s_cbranch_execz .LBB5_218
; %bb.215:
	v_mov_b32_e32 v1, 0
	s_clause 0x2
	global_load_b64 v[2:3], v1, s[8:9] offset:40
	global_load_b64 v[10:11], v1, s[8:9] offset:24 scope:SCOPE_SYS
	global_load_b64 v[4:5], v1, s[8:9]
	s_wait_loadcnt 0x2
	v_readfirstlane_b32 s14, v2
	v_readfirstlane_b32 s15, v3
	s_add_nc_u64 s[2:3], s[14:15], 1
	s_delay_alu instid0(SALU_CYCLE_1) | instskip(NEXT) | instid1(SALU_CYCLE_1)
	s_add_nc_u64 s[10:11], s[2:3], s[10:11]
	s_cmp_eq_u64 s[10:11], 0
	s_cselect_b32 s3, s3, s11
	s_cselect_b32 s2, s2, s10
	v_mov_b32_e32 v9, s3
	s_and_b64 s[10:11], s[2:3], s[14:15]
	v_mov_b32_e32 v8, s2
	s_mul_u64 s[10:11], s[10:11], 24
	s_wait_loadcnt 0x0
	v_add_nc_u64_e32 v[6:7], s[10:11], v[4:5]
	global_store_b64 v[6:7], v[10:11], off
	global_wb scope:SCOPE_SYS
	s_wait_storecnt 0x0
	s_wait_xcnt 0x0
	global_atomic_cmpswap_b64 v[4:5], v1, v[8:11], s[8:9] offset:24 th:TH_ATOMIC_RETURN scope:SCOPE_SYS
	s_wait_loadcnt 0x0
	v_cmp_ne_u64_e32 vcc_lo, v[4:5], v[10:11]
	s_and_b32 exec_lo, exec_lo, vcc_lo
	s_cbranch_execz .LBB5_218
; %bb.216:
	s_mov_b32 s10, 0
.LBB5_217:                              ; =>This Inner Loop Header: Depth=1
	v_dual_mov_b32 v2, s2 :: v_dual_mov_b32 v3, s3
	s_sleep 1
	global_store_b64 v[6:7], v[4:5], off
	global_wb scope:SCOPE_SYS
	s_wait_storecnt 0x0
	s_wait_xcnt 0x0
	global_atomic_cmpswap_b64 v[2:3], v1, v[2:5], s[8:9] offset:24 th:TH_ATOMIC_RETURN scope:SCOPE_SYS
	s_wait_loadcnt 0x0
	v_cmp_eq_u64_e32 vcc_lo, v[2:3], v[4:5]
	v_mov_b64_e32 v[4:5], v[2:3]
	s_or_b32 s10, vcc_lo, s10
	s_delay_alu instid0(SALU_CYCLE_1)
	s_and_not1_b32 exec_lo, exec_lo, s10
	s_cbranch_execnz .LBB5_217
.LBB5_218:
	s_or_b32 exec_lo, exec_lo, s12
	v_readfirstlane_b32 s2, v29
	v_mov_b64_e32 v[6:7], 0
	s_delay_alu instid0(VALU_DEP_2)
	v_cmp_eq_u32_e64 s2, s2, v29
	s_and_saveexec_b32 s3, s2
	s_cbranch_execz .LBB5_224
; %bb.219:
	v_mov_b32_e32 v1, 0
	s_mov_b32 s10, exec_lo
	global_load_b64 v[4:5], v1, s[8:9] offset:24 scope:SCOPE_SYS
	s_wait_loadcnt 0x0
	global_inv scope:SCOPE_SYS
	s_clause 0x1
	global_load_b64 v[2:3], v1, s[8:9] offset:40
	global_load_b64 v[6:7], v1, s[8:9]
	s_wait_loadcnt 0x1
	v_and_b32_e32 v2, v2, v4
	v_and_b32_e32 v3, v3, v5
	s_delay_alu instid0(VALU_DEP_1) | instskip(SKIP_1) | instid1(VALU_DEP_1)
	v_mul_u64_e32 v[2:3], 24, v[2:3]
	s_wait_loadcnt 0x0
	v_add_nc_u64_e32 v[2:3], v[6:7], v[2:3]
	global_load_b64 v[2:3], v[2:3], off scope:SCOPE_SYS
	s_wait_xcnt 0x0
	s_wait_loadcnt 0x0
	global_atomic_cmpswap_b64 v[6:7], v1, v[2:5], s[8:9] offset:24 th:TH_ATOMIC_RETURN scope:SCOPE_SYS
	s_wait_loadcnt 0x0
	global_inv scope:SCOPE_SYS
	s_wait_xcnt 0x0
	v_cmpx_ne_u64_e64 v[6:7], v[4:5]
	s_cbranch_execz .LBB5_223
; %bb.220:
	s_mov_b32 s11, 0
.LBB5_221:                              ; =>This Inner Loop Header: Depth=1
	s_sleep 1
	s_clause 0x1
	global_load_b64 v[2:3], v1, s[8:9] offset:40
	global_load_b64 v[8:9], v1, s[8:9]
	v_mov_b64_e32 v[4:5], v[6:7]
	s_wait_loadcnt 0x1
	s_delay_alu instid0(VALU_DEP_1) | instskip(SKIP_1) | instid1(VALU_DEP_1)
	v_and_b32_e32 v2, v2, v4
	s_wait_loadcnt 0x0
	v_mad_nc_u64_u32 v[6:7], v2, 24, v[8:9]
	s_delay_alu instid0(VALU_DEP_3) | instskip(NEXT) | instid1(VALU_DEP_1)
	v_and_b32_e32 v2, v3, v5
	v_mad_u32 v7, v2, 24, v7
	global_load_b64 v[2:3], v[6:7], off scope:SCOPE_SYS
	s_wait_xcnt 0x0
	s_wait_loadcnt 0x0
	global_atomic_cmpswap_b64 v[6:7], v1, v[2:5], s[8:9] offset:24 th:TH_ATOMIC_RETURN scope:SCOPE_SYS
	s_wait_loadcnt 0x0
	global_inv scope:SCOPE_SYS
	v_cmp_eq_u64_e32 vcc_lo, v[6:7], v[4:5]
	s_or_b32 s11, vcc_lo, s11
	s_wait_xcnt 0x0
	s_and_not1_b32 exec_lo, exec_lo, s11
	s_cbranch_execnz .LBB5_221
; %bb.222:
	s_or_b32 exec_lo, exec_lo, s11
.LBB5_223:
	s_delay_alu instid0(SALU_CYCLE_1)
	s_or_b32 exec_lo, exec_lo, s10
.LBB5_224:
	s_delay_alu instid0(SALU_CYCLE_1)
	s_or_b32 exec_lo, exec_lo, s3
	v_readfirstlane_b32 s10, v6
	v_mov_b32_e32 v1, 0
	v_readfirstlane_b32 s11, v7
	s_mov_b32 s3, exec_lo
	s_clause 0x1
	global_load_b64 v[8:9], v1, s[8:9] offset:40
	global_load_b128 v[2:5], v1, s[8:9]
	s_wait_loadcnt 0x1
	v_and_b32_e32 v8, s10, v8
	v_and_b32_e32 v9, s11, v9
	s_delay_alu instid0(VALU_DEP_1) | instskip(SKIP_1) | instid1(VALU_DEP_1)
	v_mul_u64_e32 v[6:7], 24, v[8:9]
	s_wait_loadcnt 0x0
	v_add_nc_u64_e32 v[6:7], v[2:3], v[6:7]
	s_wait_xcnt 0x0
	s_and_saveexec_b32 s12, s2
	s_cbranch_execz .LBB5_226
; %bb.225:
	v_mov_b64_e32 v[12:13], 0x100000002
	v_dual_mov_b32 v10, s3 :: v_dual_mov_b32 v11, v1
	global_store_b128 v[6:7], v[10:13], off offset:8
.LBB5_226:
	s_wait_xcnt 0x0
	s_or_b32 exec_lo, exec_lo, s12
	v_lshlrev_b64_e32 v[8:9], 12, v[8:9]
	s_mov_b32 s12, 0
	v_dual_mov_b32 v10, 33 :: v_dual_mov_b32 v11, v1
	s_mov_b32 s14, s12
	s_mov_b32 s15, s12
	;; [unrolled: 1-line block ×3, first 2 shown]
	s_delay_alu instid0(VALU_DEP_2) | instskip(SKIP_3) | instid1(VALU_DEP_4)
	v_add_nc_u64_e32 v[8:9], v[4:5], v[8:9]
	v_mov_b64_e32 v[16:17], s[14:15]
	v_mov_b64_e32 v[14:15], s[12:13]
	v_dual_mov_b32 v12, v1 :: v_dual_mov_b32 v13, v1
	v_readfirstlane_b32 s16, v8
	v_readfirstlane_b32 s17, v9
	s_clause 0x3
	global_store_b128 v0, v[10:13], s[16:17]
	global_store_b128 v0, v[14:17], s[16:17] offset:16
	global_store_b128 v0, v[14:17], s[16:17] offset:32
	;; [unrolled: 1-line block ×3, first 2 shown]
	s_wait_xcnt 0x0
	s_and_saveexec_b32 s3, s2
	s_cbranch_execz .LBB5_234
; %bb.227:
	v_dual_mov_b32 v12, 0 :: v_dual_mov_b32 v15, s11
	s_mov_b32 s12, exec_lo
	s_clause 0x1
	global_load_b64 v[16:17], v12, s[8:9] offset:32 scope:SCOPE_SYS
	global_load_b64 v[4:5], v12, s[8:9] offset:40
	s_wait_loadcnt 0x0
	v_dual_mov_b32 v14, s10 :: v_dual_bitop2_b32 v5, s11, v5 bitop3:0x40
	v_and_b32_e32 v4, s10, v4
	s_delay_alu instid0(VALU_DEP_1) | instskip(NEXT) | instid1(VALU_DEP_1)
	v_mul_u64_e32 v[4:5], 24, v[4:5]
	v_add_nc_u64_e32 v[10:11], v[2:3], v[4:5]
	global_store_b64 v[10:11], v[16:17], off
	global_wb scope:SCOPE_SYS
	s_wait_storecnt 0x0
	s_wait_xcnt 0x0
	global_atomic_cmpswap_b64 v[4:5], v12, v[14:17], s[8:9] offset:32 th:TH_ATOMIC_RETURN scope:SCOPE_SYS
	s_wait_loadcnt 0x0
	v_cmpx_ne_u64_e64 v[4:5], v[16:17]
	s_cbranch_execz .LBB5_230
; %bb.228:
	s_mov_b32 s13, 0
.LBB5_229:                              ; =>This Inner Loop Header: Depth=1
	v_dual_mov_b32 v2, s10 :: v_dual_mov_b32 v3, s11
	s_sleep 1
	global_store_b64 v[10:11], v[4:5], off
	global_wb scope:SCOPE_SYS
	s_wait_storecnt 0x0
	s_wait_xcnt 0x0
	global_atomic_cmpswap_b64 v[2:3], v12, v[2:5], s[8:9] offset:32 th:TH_ATOMIC_RETURN scope:SCOPE_SYS
	s_wait_loadcnt 0x0
	v_cmp_eq_u64_e32 vcc_lo, v[2:3], v[4:5]
	v_mov_b64_e32 v[4:5], v[2:3]
	s_or_b32 s13, vcc_lo, s13
	s_delay_alu instid0(SALU_CYCLE_1)
	s_and_not1_b32 exec_lo, exec_lo, s13
	s_cbranch_execnz .LBB5_229
.LBB5_230:
	s_or_b32 exec_lo, exec_lo, s12
	v_mov_b32_e32 v5, 0
	s_mov_b32 s13, exec_lo
	s_mov_b32 s12, exec_lo
	v_mbcnt_lo_u32_b32 v4, s13, 0
	global_load_b64 v[2:3], v5, s[8:9] offset:16
	s_wait_xcnt 0x0
	v_cmpx_eq_u32_e32 0, v4
	s_cbranch_execz .LBB5_232
; %bb.231:
	s_bcnt1_i32_b32 s13, s13
	s_delay_alu instid0(SALU_CYCLE_1)
	v_mov_b32_e32 v4, s13
	global_wb scope:SCOPE_SYS
	s_wait_loadcnt 0x0
	s_wait_storecnt 0x0
	global_atomic_add_u64 v[2:3], v[4:5], off offset:8 scope:SCOPE_SYS
.LBB5_232:
	s_wait_xcnt 0x0
	s_or_b32 exec_lo, exec_lo, s12
	s_wait_loadcnt 0x0
	global_load_b64 v[4:5], v[2:3], off offset:16
	s_wait_loadcnt 0x0
	v_cmp_eq_u64_e32 vcc_lo, 0, v[4:5]
	s_cbranch_vccnz .LBB5_234
; %bb.233:
	global_load_b32 v2, v[2:3], off offset:24
	s_wait_xcnt 0x0
	v_mov_b32_e32 v3, 0
	s_wait_loadcnt 0x0
	v_readfirstlane_b32 s12, v2
	global_wb scope:SCOPE_SYS
	s_wait_storecnt 0x0
	global_store_b64 v[4:5], v[2:3], off scope:SCOPE_SYS
	s_and_b32 m0, s12, 0xffffff
	s_sendmsg sendmsg(MSG_INTERRUPT)
.LBB5_234:
	s_wait_xcnt 0x0
	s_or_b32 exec_lo, exec_lo, s3
	v_add_nc_u64_e32 v[2:3], v[8:9], v[0:1]
	s_branch .LBB5_238
.LBB5_235:                              ;   in Loop: Header=BB5_238 Depth=1
	s_wait_xcnt 0x0
	s_or_b32 exec_lo, exec_lo, s3
	s_delay_alu instid0(VALU_DEP_1)
	v_readfirstlane_b32 s3, v1
	s_cmp_eq_u32 s3, 0
	s_cbranch_scc1 .LBB5_237
; %bb.236:                              ;   in Loop: Header=BB5_238 Depth=1
	s_sleep 1
	s_cbranch_execnz .LBB5_238
	s_branch .LBB5_240
.LBB5_237:
	s_branch .LBB5_240
.LBB5_238:                              ; =>This Inner Loop Header: Depth=1
	v_mov_b32_e32 v1, 1
	s_and_saveexec_b32 s3, s2
	s_cbranch_execz .LBB5_235
; %bb.239:                              ;   in Loop: Header=BB5_238 Depth=1
	global_load_b32 v1, v[6:7], off offset:20 scope:SCOPE_SYS
	s_wait_loadcnt 0x0
	global_inv scope:SCOPE_SYS
	v_and_b32_e32 v1, 1, v1
	s_branch .LBB5_235
.LBB5_240:
	global_load_b64 v[2:3], v[2:3], off
	s_wait_xcnt 0x0
	s_and_saveexec_b32 s12, s2
	s_cbranch_execz .LBB5_244
; %bb.241:
	v_mov_b32_e32 v1, 0
	s_clause 0x2
	global_load_b64 v[4:5], v1, s[8:9] offset:40
	global_load_b64 v[12:13], v1, s[8:9] offset:24 scope:SCOPE_SYS
	global_load_b64 v[6:7], v1, s[8:9]
	s_wait_loadcnt 0x2
	v_readfirstlane_b32 s14, v4
	v_readfirstlane_b32 s15, v5
	s_add_nc_u64 s[2:3], s[14:15], 1
	s_delay_alu instid0(SALU_CYCLE_1) | instskip(NEXT) | instid1(SALU_CYCLE_1)
	s_add_nc_u64 s[10:11], s[2:3], s[10:11]
	s_cmp_eq_u64 s[10:11], 0
	s_cselect_b32 s3, s3, s11
	s_cselect_b32 s2, s2, s10
	v_mov_b32_e32 v11, s3
	s_and_b64 s[10:11], s[2:3], s[14:15]
	v_mov_b32_e32 v10, s2
	s_mul_u64 s[10:11], s[10:11], 24
	s_wait_loadcnt 0x0
	v_add_nc_u64_e32 v[8:9], s[10:11], v[6:7]
	global_store_b64 v[8:9], v[12:13], off
	global_wb scope:SCOPE_SYS
	s_wait_storecnt 0x0
	s_wait_xcnt 0x0
	global_atomic_cmpswap_b64 v[6:7], v1, v[10:13], s[8:9] offset:24 th:TH_ATOMIC_RETURN scope:SCOPE_SYS
	s_wait_loadcnt 0x0
	v_cmp_ne_u64_e32 vcc_lo, v[6:7], v[12:13]
	s_and_b32 exec_lo, exec_lo, vcc_lo
	s_cbranch_execz .LBB5_244
; %bb.242:
	s_mov_b32 s10, 0
.LBB5_243:                              ; =>This Inner Loop Header: Depth=1
	v_dual_mov_b32 v4, s2 :: v_dual_mov_b32 v5, s3
	s_sleep 1
	global_store_b64 v[8:9], v[6:7], off
	global_wb scope:SCOPE_SYS
	s_wait_storecnt 0x0
	s_wait_xcnt 0x0
	global_atomic_cmpswap_b64 v[4:5], v1, v[4:7], s[8:9] offset:24 th:TH_ATOMIC_RETURN scope:SCOPE_SYS
	s_wait_loadcnt 0x0
	v_cmp_eq_u64_e32 vcc_lo, v[4:5], v[6:7]
	v_mov_b64_e32 v[6:7], v[4:5]
	s_or_b32 s10, vcc_lo, s10
	s_delay_alu instid0(SALU_CYCLE_1)
	s_and_not1_b32 exec_lo, exec_lo, s10
	s_cbranch_execnz .LBB5_243
.LBB5_244:
	s_or_b32 exec_lo, exec_lo, s12
	s_get_pc_i64 s[10:11]
	s_add_nc_u64 s[10:11], s[10:11], .str.1@rel64+4
	s_delay_alu instid0(SALU_CYCLE_1)
	s_cmp_lg_u64 s[10:11], 0
	s_cbranch_scc0 .LBB5_323
; %bb.245:
	v_mov_b64_e32 v[10:11], 0x100000002
	s_wait_loadcnt 0x0
	v_dual_mov_b32 v9, 0 :: v_dual_bitop2_b32 v30, 2, v2 bitop3:0x40
	v_dual_mov_b32 v5, v3 :: v_dual_bitop2_b32 v4, -3, v2 bitop3:0x40
	s_mov_b64 s[12:13], 48
	s_branch .LBB5_247
.LBB5_246:                              ;   in Loop: Header=BB5_247 Depth=1
	s_or_b32 exec_lo, exec_lo, s18
	s_sub_nc_u64 s[12:13], s[12:13], s[14:15]
	s_add_nc_u64 s[10:11], s[10:11], s[14:15]
	s_cmp_lg_u64 s[12:13], 0
	s_cbranch_scc0 .LBB5_322
.LBB5_247:                              ; =>This Loop Header: Depth=1
                                        ;     Child Loop BB5_250 Depth 2
                                        ;     Child Loop BB5_257 Depth 2
	;; [unrolled: 1-line block ×11, first 2 shown]
	v_min_u64 v[6:7], s[12:13], 56
	v_cmp_gt_u64_e64 s2, s[12:13], 7
	s_and_b32 vcc_lo, exec_lo, s2
	v_readfirstlane_b32 s14, v6
	v_readfirstlane_b32 s15, v7
	s_cbranch_vccnz .LBB5_252
; %bb.248:                              ;   in Loop: Header=BB5_247 Depth=1
	v_mov_b64_e32 v[6:7], 0
	s_cmp_eq_u64 s[12:13], 0
	s_cbranch_scc1 .LBB5_251
; %bb.249:                              ;   in Loop: Header=BB5_247 Depth=1
	s_mov_b64 s[2:3], 0
	s_mov_b64 s[16:17], 0
.LBB5_250:                              ;   Parent Loop BB5_247 Depth=1
                                        ; =>  This Inner Loop Header: Depth=2
	s_wait_xcnt 0x0
	s_add_nc_u64 s[18:19], s[10:11], s[16:17]
	s_add_nc_u64 s[16:17], s[16:17], 1
	global_load_u8 v1, v9, s[18:19]
	s_cmp_lg_u32 s14, s16
	s_wait_loadcnt 0x0
	v_and_b32_e32 v8, 0xffff, v1
	s_delay_alu instid0(VALU_DEP_1) | instskip(SKIP_1) | instid1(VALU_DEP_1)
	v_lshlrev_b64_e32 v[12:13], s2, v[8:9]
	s_add_nc_u64 s[2:3], s[2:3], 8
	v_or_b32_e32 v6, v12, v6
	s_delay_alu instid0(VALU_DEP_2)
	v_or_b32_e32 v7, v13, v7
	s_cbranch_scc1 .LBB5_250
.LBB5_251:                              ;   in Loop: Header=BB5_247 Depth=1
	s_mov_b64 s[16:17], s[10:11]
	s_mov_b32 s20, 0
	s_cbranch_execz .LBB5_253
	s_branch .LBB5_254
.LBB5_252:                              ;   in Loop: Header=BB5_247 Depth=1
	s_add_nc_u64 s[16:17], s[10:11], 8
	s_mov_b32 s20, 0
.LBB5_253:                              ;   in Loop: Header=BB5_247 Depth=1
	global_load_b64 v[6:7], v9, s[10:11]
	s_add_co_i32 s20, s14, -8
.LBB5_254:                              ;   in Loop: Header=BB5_247 Depth=1
	s_delay_alu instid0(SALU_CYCLE_1)
	s_cmp_gt_u32 s20, 7
	s_cbranch_scc1 .LBB5_259
; %bb.255:                              ;   in Loop: Header=BB5_247 Depth=1
	v_mov_b64_e32 v[12:13], 0
	s_cmp_eq_u32 s20, 0
	s_cbranch_scc1 .LBB5_258
; %bb.256:                              ;   in Loop: Header=BB5_247 Depth=1
	s_mov_b64 s[2:3], 0
	s_wait_xcnt 0x0
	s_mov_b64 s[18:19], 0
.LBB5_257:                              ;   Parent Loop BB5_247 Depth=1
                                        ; =>  This Inner Loop Header: Depth=2
	s_wait_xcnt 0x0
	s_add_nc_u64 s[24:25], s[16:17], s[18:19]
	s_add_nc_u64 s[18:19], s[18:19], 1
	global_load_u8 v1, v9, s[24:25]
	s_cmp_lg_u32 s20, s18
	s_wait_loadcnt 0x0
	v_and_b32_e32 v8, 0xffff, v1
	s_delay_alu instid0(VALU_DEP_1) | instskip(SKIP_1) | instid1(VALU_DEP_1)
	v_lshlrev_b64_e32 v[14:15], s2, v[8:9]
	s_add_nc_u64 s[2:3], s[2:3], 8
	v_or_b32_e32 v12, v14, v12
	s_delay_alu instid0(VALU_DEP_2)
	v_or_b32_e32 v13, v15, v13
	s_cbranch_scc1 .LBB5_257
.LBB5_258:                              ;   in Loop: Header=BB5_247 Depth=1
	s_wait_xcnt 0x0
	s_mov_b64 s[2:3], s[16:17]
	s_mov_b32 s21, 0
	s_cbranch_execz .LBB5_260
	s_branch .LBB5_261
.LBB5_259:                              ;   in Loop: Header=BB5_247 Depth=1
	s_add_nc_u64 s[2:3], s[16:17], 8
	s_wait_xcnt 0x0
                                        ; implicit-def: $vgpr12_vgpr13
	s_mov_b32 s21, 0
.LBB5_260:                              ;   in Loop: Header=BB5_247 Depth=1
	global_load_b64 v[12:13], v9, s[16:17]
	s_add_co_i32 s21, s20, -8
.LBB5_261:                              ;   in Loop: Header=BB5_247 Depth=1
	s_delay_alu instid0(SALU_CYCLE_1)
	s_cmp_gt_u32 s21, 7
	s_cbranch_scc1 .LBB5_266
; %bb.262:                              ;   in Loop: Header=BB5_247 Depth=1
	v_mov_b64_e32 v[14:15], 0
	s_cmp_eq_u32 s21, 0
	s_cbranch_scc1 .LBB5_265
; %bb.263:                              ;   in Loop: Header=BB5_247 Depth=1
	s_wait_xcnt 0x0
	s_mov_b64 s[16:17], 0
	s_mov_b64 s[18:19], 0
.LBB5_264:                              ;   Parent Loop BB5_247 Depth=1
                                        ; =>  This Inner Loop Header: Depth=2
	s_wait_xcnt 0x0
	s_add_nc_u64 s[24:25], s[2:3], s[18:19]
	s_add_nc_u64 s[18:19], s[18:19], 1
	global_load_u8 v1, v9, s[24:25]
	s_cmp_lg_u32 s21, s18
	s_wait_loadcnt 0x0
	v_and_b32_e32 v8, 0xffff, v1
	s_delay_alu instid0(VALU_DEP_1) | instskip(SKIP_1) | instid1(VALU_DEP_1)
	v_lshlrev_b64_e32 v[16:17], s16, v[8:9]
	s_add_nc_u64 s[16:17], s[16:17], 8
	v_or_b32_e32 v14, v16, v14
	s_delay_alu instid0(VALU_DEP_2)
	v_or_b32_e32 v15, v17, v15
	s_cbranch_scc1 .LBB5_264
.LBB5_265:                              ;   in Loop: Header=BB5_247 Depth=1
	s_wait_xcnt 0x0
	s_mov_b64 s[16:17], s[2:3]
	s_mov_b32 s20, 0
	s_cbranch_execz .LBB5_267
	s_branch .LBB5_268
.LBB5_266:                              ;   in Loop: Header=BB5_247 Depth=1
	s_wait_xcnt 0x0
	s_add_nc_u64 s[16:17], s[2:3], 8
	s_mov_b32 s20, 0
.LBB5_267:                              ;   in Loop: Header=BB5_247 Depth=1
	global_load_b64 v[14:15], v9, s[2:3]
	s_add_co_i32 s20, s21, -8
.LBB5_268:                              ;   in Loop: Header=BB5_247 Depth=1
	s_delay_alu instid0(SALU_CYCLE_1)
	s_cmp_gt_u32 s20, 7
	s_cbranch_scc1 .LBB5_273
; %bb.269:                              ;   in Loop: Header=BB5_247 Depth=1
	v_mov_b64_e32 v[16:17], 0
	s_cmp_eq_u32 s20, 0
	s_cbranch_scc1 .LBB5_272
; %bb.270:                              ;   in Loop: Header=BB5_247 Depth=1
	s_wait_xcnt 0x0
	s_mov_b64 s[2:3], 0
	s_mov_b64 s[18:19], 0
.LBB5_271:                              ;   Parent Loop BB5_247 Depth=1
                                        ; =>  This Inner Loop Header: Depth=2
	s_wait_xcnt 0x0
	s_add_nc_u64 s[24:25], s[16:17], s[18:19]
	s_add_nc_u64 s[18:19], s[18:19], 1
	global_load_u8 v1, v9, s[24:25]
	s_cmp_lg_u32 s20, s18
	s_wait_loadcnt 0x0
	v_and_b32_e32 v8, 0xffff, v1
	s_delay_alu instid0(VALU_DEP_1) | instskip(SKIP_1) | instid1(VALU_DEP_1)
	v_lshlrev_b64_e32 v[18:19], s2, v[8:9]
	s_add_nc_u64 s[2:3], s[2:3], 8
	v_or_b32_e32 v16, v18, v16
	s_delay_alu instid0(VALU_DEP_2)
	v_or_b32_e32 v17, v19, v17
	s_cbranch_scc1 .LBB5_271
.LBB5_272:                              ;   in Loop: Header=BB5_247 Depth=1
	s_wait_xcnt 0x0
	s_mov_b64 s[2:3], s[16:17]
	s_mov_b32 s21, 0
	s_cbranch_execz .LBB5_274
	s_branch .LBB5_275
.LBB5_273:                              ;   in Loop: Header=BB5_247 Depth=1
	s_wait_xcnt 0x0
	s_add_nc_u64 s[2:3], s[16:17], 8
                                        ; implicit-def: $vgpr16_vgpr17
	s_mov_b32 s21, 0
.LBB5_274:                              ;   in Loop: Header=BB5_247 Depth=1
	global_load_b64 v[16:17], v9, s[16:17]
	s_add_co_i32 s21, s20, -8
.LBB5_275:                              ;   in Loop: Header=BB5_247 Depth=1
	s_delay_alu instid0(SALU_CYCLE_1)
	s_cmp_gt_u32 s21, 7
	s_cbranch_scc1 .LBB5_280
; %bb.276:                              ;   in Loop: Header=BB5_247 Depth=1
	v_mov_b64_e32 v[18:19], 0
	s_cmp_eq_u32 s21, 0
	s_cbranch_scc1 .LBB5_279
; %bb.277:                              ;   in Loop: Header=BB5_247 Depth=1
	s_wait_xcnt 0x0
	s_mov_b64 s[16:17], 0
	s_mov_b64 s[18:19], 0
.LBB5_278:                              ;   Parent Loop BB5_247 Depth=1
                                        ; =>  This Inner Loop Header: Depth=2
	s_wait_xcnt 0x0
	s_add_nc_u64 s[24:25], s[2:3], s[18:19]
	s_add_nc_u64 s[18:19], s[18:19], 1
	global_load_u8 v1, v9, s[24:25]
	s_cmp_lg_u32 s21, s18
	s_wait_loadcnt 0x0
	v_and_b32_e32 v8, 0xffff, v1
	s_delay_alu instid0(VALU_DEP_1) | instskip(SKIP_1) | instid1(VALU_DEP_1)
	v_lshlrev_b64_e32 v[20:21], s16, v[8:9]
	s_add_nc_u64 s[16:17], s[16:17], 8
	v_or_b32_e32 v18, v20, v18
	s_delay_alu instid0(VALU_DEP_2)
	v_or_b32_e32 v19, v21, v19
	s_cbranch_scc1 .LBB5_278
.LBB5_279:                              ;   in Loop: Header=BB5_247 Depth=1
	s_wait_xcnt 0x0
	s_mov_b64 s[16:17], s[2:3]
	s_mov_b32 s20, 0
	s_cbranch_execz .LBB5_281
	s_branch .LBB5_282
.LBB5_280:                              ;   in Loop: Header=BB5_247 Depth=1
	s_wait_xcnt 0x0
	s_add_nc_u64 s[16:17], s[2:3], 8
	s_mov_b32 s20, 0
.LBB5_281:                              ;   in Loop: Header=BB5_247 Depth=1
	global_load_b64 v[18:19], v9, s[2:3]
	s_add_co_i32 s20, s21, -8
.LBB5_282:                              ;   in Loop: Header=BB5_247 Depth=1
	s_delay_alu instid0(SALU_CYCLE_1)
	s_cmp_gt_u32 s20, 7
	s_cbranch_scc1 .LBB5_287
; %bb.283:                              ;   in Loop: Header=BB5_247 Depth=1
	v_mov_b64_e32 v[20:21], 0
	s_cmp_eq_u32 s20, 0
	s_cbranch_scc1 .LBB5_286
; %bb.284:                              ;   in Loop: Header=BB5_247 Depth=1
	s_wait_xcnt 0x0
	s_mov_b64 s[2:3], 0
	s_mov_b64 s[18:19], 0
.LBB5_285:                              ;   Parent Loop BB5_247 Depth=1
                                        ; =>  This Inner Loop Header: Depth=2
	s_wait_xcnt 0x0
	s_add_nc_u64 s[24:25], s[16:17], s[18:19]
	s_add_nc_u64 s[18:19], s[18:19], 1
	global_load_u8 v1, v9, s[24:25]
	s_cmp_lg_u32 s20, s18
	s_wait_loadcnt 0x0
	v_and_b32_e32 v8, 0xffff, v1
	s_delay_alu instid0(VALU_DEP_1) | instskip(SKIP_1) | instid1(VALU_DEP_1)
	v_lshlrev_b64_e32 v[22:23], s2, v[8:9]
	s_add_nc_u64 s[2:3], s[2:3], 8
	v_or_b32_e32 v20, v22, v20
	s_delay_alu instid0(VALU_DEP_2)
	v_or_b32_e32 v21, v23, v21
	s_cbranch_scc1 .LBB5_285
.LBB5_286:                              ;   in Loop: Header=BB5_247 Depth=1
	s_wait_xcnt 0x0
	s_mov_b64 s[2:3], s[16:17]
	s_mov_b32 s21, 0
	s_cbranch_execz .LBB5_288
	s_branch .LBB5_289
.LBB5_287:                              ;   in Loop: Header=BB5_247 Depth=1
	s_wait_xcnt 0x0
	s_add_nc_u64 s[2:3], s[16:17], 8
                                        ; implicit-def: $vgpr20_vgpr21
	s_mov_b32 s21, 0
.LBB5_288:                              ;   in Loop: Header=BB5_247 Depth=1
	global_load_b64 v[20:21], v9, s[16:17]
	s_add_co_i32 s21, s20, -8
.LBB5_289:                              ;   in Loop: Header=BB5_247 Depth=1
	s_delay_alu instid0(SALU_CYCLE_1)
	s_cmp_gt_u32 s21, 7
	s_cbranch_scc1 .LBB5_294
; %bb.290:                              ;   in Loop: Header=BB5_247 Depth=1
	v_mov_b64_e32 v[22:23], 0
	s_cmp_eq_u32 s21, 0
	s_cbranch_scc1 .LBB5_293
; %bb.291:                              ;   in Loop: Header=BB5_247 Depth=1
	s_wait_xcnt 0x0
	s_mov_b64 s[16:17], 0
	s_mov_b64 s[18:19], s[2:3]
.LBB5_292:                              ;   Parent Loop BB5_247 Depth=1
                                        ; =>  This Inner Loop Header: Depth=2
	global_load_u8 v1, v9, s[18:19]
	s_add_co_i32 s21, s21, -1
	s_wait_xcnt 0x0
	s_add_nc_u64 s[18:19], s[18:19], 1
	s_cmp_lg_u32 s21, 0
	s_wait_loadcnt 0x0
	v_and_b32_e32 v8, 0xffff, v1
	s_delay_alu instid0(VALU_DEP_1) | instskip(SKIP_1) | instid1(VALU_DEP_1)
	v_lshlrev_b64_e32 v[24:25], s16, v[8:9]
	s_add_nc_u64 s[16:17], s[16:17], 8
	v_or_b32_e32 v22, v24, v22
	s_delay_alu instid0(VALU_DEP_2)
	v_or_b32_e32 v23, v25, v23
	s_cbranch_scc1 .LBB5_292
.LBB5_293:                              ;   in Loop: Header=BB5_247 Depth=1
	s_wait_xcnt 0x0
	s_cbranch_execz .LBB5_295
	s_branch .LBB5_296
.LBB5_294:                              ;   in Loop: Header=BB5_247 Depth=1
	s_wait_xcnt 0x0
.LBB5_295:                              ;   in Loop: Header=BB5_247 Depth=1
	global_load_b64 v[22:23], v9, s[2:3]
.LBB5_296:                              ;   in Loop: Header=BB5_247 Depth=1
	s_wait_xcnt 0x0
	v_readfirstlane_b32 s2, v29
	v_mov_b64_e32 v[32:33], 0
	s_delay_alu instid0(VALU_DEP_2)
	v_cmp_eq_u32_e64 s2, s2, v29
	s_and_saveexec_b32 s3, s2
	s_cbranch_execz .LBB5_302
; %bb.297:                              ;   in Loop: Header=BB5_247 Depth=1
	global_load_b64 v[26:27], v9, s[8:9] offset:24 scope:SCOPE_SYS
	s_wait_loadcnt 0x0
	global_inv scope:SCOPE_SYS
	s_clause 0x1
	global_load_b64 v[24:25], v9, s[8:9] offset:40
	global_load_b64 v[32:33], v9, s[8:9]
	s_mov_b32 s16, exec_lo
	s_wait_loadcnt 0x1
	v_and_b32_e32 v24, v24, v26
	v_and_b32_e32 v25, v25, v27
	s_delay_alu instid0(VALU_DEP_1) | instskip(SKIP_1) | instid1(VALU_DEP_1)
	v_mul_u64_e32 v[24:25], 24, v[24:25]
	s_wait_loadcnt 0x0
	v_add_nc_u64_e32 v[24:25], v[32:33], v[24:25]
	global_load_b64 v[24:25], v[24:25], off scope:SCOPE_SYS
	s_wait_xcnt 0x0
	s_wait_loadcnt 0x0
	global_atomic_cmpswap_b64 v[32:33], v9, v[24:27], s[8:9] offset:24 th:TH_ATOMIC_RETURN scope:SCOPE_SYS
	s_wait_loadcnt 0x0
	global_inv scope:SCOPE_SYS
	s_wait_xcnt 0x0
	v_cmpx_ne_u64_e64 v[32:33], v[26:27]
	s_cbranch_execz .LBB5_301
; %bb.298:                              ;   in Loop: Header=BB5_247 Depth=1
	s_mov_b32 s17, 0
.LBB5_299:                              ;   Parent Loop BB5_247 Depth=1
                                        ; =>  This Inner Loop Header: Depth=2
	s_sleep 1
	s_clause 0x1
	global_load_b64 v[24:25], v9, s[8:9] offset:40
	global_load_b64 v[34:35], v9, s[8:9]
	v_mov_b64_e32 v[26:27], v[32:33]
	s_wait_loadcnt 0x1
	s_delay_alu instid0(VALU_DEP_1) | instskip(SKIP_1) | instid1(VALU_DEP_1)
	v_and_b32_e32 v1, v24, v26
	s_wait_loadcnt 0x0
	v_mad_nc_u64_u32 v[32:33], v1, 24, v[34:35]
	s_delay_alu instid0(VALU_DEP_3) | instskip(NEXT) | instid1(VALU_DEP_1)
	v_and_b32_e32 v1, v25, v27
	v_mad_u32 v33, v1, 24, v33
	global_load_b64 v[24:25], v[32:33], off scope:SCOPE_SYS
	s_wait_xcnt 0x0
	s_wait_loadcnt 0x0
	global_atomic_cmpswap_b64 v[32:33], v9, v[24:27], s[8:9] offset:24 th:TH_ATOMIC_RETURN scope:SCOPE_SYS
	s_wait_loadcnt 0x0
	global_inv scope:SCOPE_SYS
	v_cmp_eq_u64_e32 vcc_lo, v[32:33], v[26:27]
	s_or_b32 s17, vcc_lo, s17
	s_wait_xcnt 0x0
	s_and_not1_b32 exec_lo, exec_lo, s17
	s_cbranch_execnz .LBB5_299
; %bb.300:                              ;   in Loop: Header=BB5_247 Depth=1
	s_or_b32 exec_lo, exec_lo, s17
.LBB5_301:                              ;   in Loop: Header=BB5_247 Depth=1
	s_delay_alu instid0(SALU_CYCLE_1)
	s_or_b32 exec_lo, exec_lo, s16
.LBB5_302:                              ;   in Loop: Header=BB5_247 Depth=1
	s_delay_alu instid0(SALU_CYCLE_1)
	s_or_b32 exec_lo, exec_lo, s3
	s_clause 0x1
	global_load_b64 v[34:35], v9, s[8:9] offset:40
	global_load_b128 v[24:27], v9, s[8:9]
	v_readfirstlane_b32 s16, v32
	v_readfirstlane_b32 s17, v33
	s_mov_b32 s3, exec_lo
	s_wait_loadcnt 0x1
	v_and_b32_e32 v34, s16, v34
	v_and_b32_e32 v35, s17, v35
	s_delay_alu instid0(VALU_DEP_1) | instskip(SKIP_1) | instid1(VALU_DEP_1)
	v_mul_u64_e32 v[32:33], 24, v[34:35]
	s_wait_loadcnt 0x0
	v_add_nc_u64_e32 v[32:33], v[24:25], v[32:33]
	s_wait_xcnt 0x0
	s_and_saveexec_b32 s18, s2
	s_cbranch_execz .LBB5_304
; %bb.303:                              ;   in Loop: Header=BB5_247 Depth=1
	v_mov_b32_e32 v8, s3
	global_store_b128 v[32:33], v[8:11], off offset:8
.LBB5_304:                              ;   in Loop: Header=BB5_247 Depth=1
	s_wait_xcnt 0x0
	s_or_b32 exec_lo, exec_lo, s18
	v_cmp_lt_u64_e64 vcc_lo, s[12:13], 57
	v_lshlrev_b64_e32 v[34:35], 12, v[34:35]
	v_and_b32_e32 v4, 0xffffff1f, v4
	s_lshl_b32 s3, s14, 2
	s_delay_alu instid0(SALU_CYCLE_1) | instskip(SKIP_1) | instid1(VALU_DEP_3)
	s_add_co_i32 s3, s3, 28
	v_cndmask_b32_e32 v1, 0, v30, vcc_lo
	v_add_nc_u64_e32 v[26:27], v[26:27], v[34:35]
	s_delay_alu instid0(VALU_DEP_2) | instskip(NEXT) | instid1(VALU_DEP_2)
	v_or_b32_e32 v1, v4, v1
	v_readfirstlane_b32 s18, v26
	s_delay_alu instid0(VALU_DEP_3) | instskip(NEXT) | instid1(VALU_DEP_3)
	v_readfirstlane_b32 s19, v27
	v_and_or_b32 v4, 0x1e0, s3, v1
	s_clause 0x3
	global_store_b128 v0, v[4:7], s[18:19]
	global_store_b128 v0, v[12:15], s[18:19] offset:16
	global_store_b128 v0, v[16:19], s[18:19] offset:32
	global_store_b128 v0, v[20:23], s[18:19] offset:48
	s_wait_xcnt 0x0
	s_and_saveexec_b32 s3, s2
	s_cbranch_execz .LBB5_312
; %bb.305:                              ;   in Loop: Header=BB5_247 Depth=1
	s_clause 0x1
	global_load_b64 v[16:17], v9, s[8:9] offset:32 scope:SCOPE_SYS
	global_load_b64 v[4:5], v9, s[8:9] offset:40
	s_mov_b32 s18, exec_lo
	v_dual_mov_b32 v14, s16 :: v_dual_mov_b32 v15, s17
	s_wait_loadcnt 0x0
	v_and_b32_e32 v5, s17, v5
	v_and_b32_e32 v4, s16, v4
	s_delay_alu instid0(VALU_DEP_1) | instskip(NEXT) | instid1(VALU_DEP_1)
	v_mul_u64_e32 v[4:5], 24, v[4:5]
	v_add_nc_u64_e32 v[12:13], v[24:25], v[4:5]
	global_store_b64 v[12:13], v[16:17], off
	global_wb scope:SCOPE_SYS
	s_wait_storecnt 0x0
	s_wait_xcnt 0x0
	global_atomic_cmpswap_b64 v[6:7], v9, v[14:17], s[8:9] offset:32 th:TH_ATOMIC_RETURN scope:SCOPE_SYS
	s_wait_loadcnt 0x0
	v_cmpx_ne_u64_e64 v[6:7], v[16:17]
	s_cbranch_execz .LBB5_308
; %bb.306:                              ;   in Loop: Header=BB5_247 Depth=1
	s_mov_b32 s19, 0
.LBB5_307:                              ;   Parent Loop BB5_247 Depth=1
                                        ; =>  This Inner Loop Header: Depth=2
	v_dual_mov_b32 v4, s16 :: v_dual_mov_b32 v5, s17
	s_sleep 1
	global_store_b64 v[12:13], v[6:7], off
	global_wb scope:SCOPE_SYS
	s_wait_storecnt 0x0
	s_wait_xcnt 0x0
	global_atomic_cmpswap_b64 v[4:5], v9, v[4:7], s[8:9] offset:32 th:TH_ATOMIC_RETURN scope:SCOPE_SYS
	s_wait_loadcnt 0x0
	v_cmp_eq_u64_e32 vcc_lo, v[4:5], v[6:7]
	v_mov_b64_e32 v[6:7], v[4:5]
	s_or_b32 s19, vcc_lo, s19
	s_delay_alu instid0(SALU_CYCLE_1)
	s_and_not1_b32 exec_lo, exec_lo, s19
	s_cbranch_execnz .LBB5_307
.LBB5_308:                              ;   in Loop: Header=BB5_247 Depth=1
	s_or_b32 exec_lo, exec_lo, s18
	global_load_b64 v[4:5], v9, s[8:9] offset:16
	s_mov_b32 s19, exec_lo
	s_mov_b32 s18, exec_lo
	v_mbcnt_lo_u32_b32 v1, s19, 0
	s_wait_xcnt 0x0
	s_delay_alu instid0(VALU_DEP_1)
	v_cmpx_eq_u32_e32 0, v1
	s_cbranch_execz .LBB5_310
; %bb.309:                              ;   in Loop: Header=BB5_247 Depth=1
	s_bcnt1_i32_b32 s19, s19
	s_delay_alu instid0(SALU_CYCLE_1)
	v_mov_b32_e32 v8, s19
	global_wb scope:SCOPE_SYS
	s_wait_loadcnt 0x0
	s_wait_storecnt 0x0
	global_atomic_add_u64 v[4:5], v[8:9], off offset:8 scope:SCOPE_SYS
.LBB5_310:                              ;   in Loop: Header=BB5_247 Depth=1
	s_wait_xcnt 0x0
	s_or_b32 exec_lo, exec_lo, s18
	s_wait_loadcnt 0x0
	global_load_b64 v[6:7], v[4:5], off offset:16
	s_wait_loadcnt 0x0
	v_cmp_eq_u64_e32 vcc_lo, 0, v[6:7]
	s_cbranch_vccnz .LBB5_312
; %bb.311:                              ;   in Loop: Header=BB5_247 Depth=1
	global_load_b32 v8, v[4:5], off offset:24
	s_wait_loadcnt 0x0
	v_readfirstlane_b32 s18, v8
	global_wb scope:SCOPE_SYS
	s_wait_storecnt 0x0
	s_wait_xcnt 0x0
	global_store_b64 v[6:7], v[8:9], off scope:SCOPE_SYS
	s_and_b32 m0, s18, 0xffffff
	s_sendmsg sendmsg(MSG_INTERRUPT)
.LBB5_312:                              ;   in Loop: Header=BB5_247 Depth=1
	s_wait_xcnt 0x0
	s_or_b32 exec_lo, exec_lo, s3
	v_mov_b32_e32 v1, v9
	s_delay_alu instid0(VALU_DEP_1)
	v_add_nc_u64_e32 v[4:5], v[26:27], v[0:1]
	s_branch .LBB5_316
.LBB5_313:                              ;   in Loop: Header=BB5_316 Depth=2
	s_wait_xcnt 0x0
	s_or_b32 exec_lo, exec_lo, s3
	s_delay_alu instid0(VALU_DEP_1)
	v_readfirstlane_b32 s3, v1
	s_cmp_eq_u32 s3, 0
	s_cbranch_scc1 .LBB5_315
; %bb.314:                              ;   in Loop: Header=BB5_316 Depth=2
	s_sleep 1
	s_cbranch_execnz .LBB5_316
	s_branch .LBB5_318
.LBB5_315:                              ;   in Loop: Header=BB5_247 Depth=1
	s_branch .LBB5_318
.LBB5_316:                              ;   Parent Loop BB5_247 Depth=1
                                        ; =>  This Inner Loop Header: Depth=2
	v_mov_b32_e32 v1, 1
	s_and_saveexec_b32 s3, s2
	s_cbranch_execz .LBB5_313
; %bb.317:                              ;   in Loop: Header=BB5_316 Depth=2
	global_load_b32 v1, v[32:33], off offset:20 scope:SCOPE_SYS
	s_wait_loadcnt 0x0
	global_inv scope:SCOPE_SYS
	v_and_b32_e32 v1, 1, v1
	s_branch .LBB5_313
.LBB5_318:                              ;   in Loop: Header=BB5_247 Depth=1
	global_load_b64 v[4:5], v[4:5], off
	s_wait_xcnt 0x0
	s_and_saveexec_b32 s18, s2
	s_cbranch_execz .LBB5_246
; %bb.319:                              ;   in Loop: Header=BB5_247 Depth=1
	s_clause 0x2
	global_load_b64 v[6:7], v9, s[8:9] offset:40
	global_load_b64 v[16:17], v9, s[8:9] offset:24 scope:SCOPE_SYS
	global_load_b64 v[12:13], v9, s[8:9]
	s_wait_loadcnt 0x2
	v_readfirstlane_b32 s20, v6
	v_readfirstlane_b32 s21, v7
	s_add_nc_u64 s[2:3], s[20:21], 1
	s_delay_alu instid0(SALU_CYCLE_1) | instskip(NEXT) | instid1(SALU_CYCLE_1)
	s_add_nc_u64 s[16:17], s[2:3], s[16:17]
	s_cmp_eq_u64 s[16:17], 0
	s_cselect_b32 s3, s3, s17
	s_cselect_b32 s2, s2, s16
	s_delay_alu instid0(SALU_CYCLE_1) | instskip(SKIP_1) | instid1(SALU_CYCLE_1)
	v_dual_mov_b32 v15, s3 :: v_dual_mov_b32 v14, s2
	s_and_b64 s[16:17], s[2:3], s[20:21]
	s_mul_u64 s[16:17], s[16:17], 24
	s_wait_loadcnt 0x0
	v_add_nc_u64_e32 v[6:7], s[16:17], v[12:13]
	global_store_b64 v[6:7], v[16:17], off
	global_wb scope:SCOPE_SYS
	s_wait_storecnt 0x0
	s_wait_xcnt 0x0
	global_atomic_cmpswap_b64 v[14:15], v9, v[14:17], s[8:9] offset:24 th:TH_ATOMIC_RETURN scope:SCOPE_SYS
	s_wait_loadcnt 0x0
	v_cmp_ne_u64_e32 vcc_lo, v[14:15], v[16:17]
	s_and_b32 exec_lo, exec_lo, vcc_lo
	s_cbranch_execz .LBB5_246
; %bb.320:                              ;   in Loop: Header=BB5_247 Depth=1
	s_mov_b32 s16, 0
.LBB5_321:                              ;   Parent Loop BB5_247 Depth=1
                                        ; =>  This Inner Loop Header: Depth=2
	v_dual_mov_b32 v12, s2 :: v_dual_mov_b32 v13, s3
	s_sleep 1
	global_store_b64 v[6:7], v[14:15], off
	global_wb scope:SCOPE_SYS
	s_wait_storecnt 0x0
	s_wait_xcnt 0x0
	global_atomic_cmpswap_b64 v[12:13], v9, v[12:15], s[8:9] offset:24 th:TH_ATOMIC_RETURN scope:SCOPE_SYS
	s_wait_loadcnt 0x0
	v_cmp_eq_u64_e32 vcc_lo, v[12:13], v[14:15]
	v_mov_b64_e32 v[14:15], v[12:13]
	s_or_b32 s16, vcc_lo, s16
	s_delay_alu instid0(SALU_CYCLE_1)
	s_and_not1_b32 exec_lo, exec_lo, s16
	s_cbranch_execnz .LBB5_321
	s_branch .LBB5_246
.LBB5_322:
	s_branch .LBB5_351
.LBB5_323:
                                        ; implicit-def: $vgpr4_vgpr5
	s_cbranch_execz .LBB5_351
; %bb.324:
	v_readfirstlane_b32 s2, v29
	s_wait_loadcnt 0x0
	v_mov_b64_e32 v[4:5], 0
	s_delay_alu instid0(VALU_DEP_2)
	v_cmp_eq_u32_e64 s2, s2, v29
	s_and_saveexec_b32 s3, s2
	s_cbranch_execz .LBB5_330
; %bb.325:
	v_mov_b32_e32 v1, 0
	s_mov_b32 s10, exec_lo
	global_load_b64 v[6:7], v1, s[8:9] offset:24 scope:SCOPE_SYS
	s_wait_loadcnt 0x0
	global_inv scope:SCOPE_SYS
	s_clause 0x1
	global_load_b64 v[4:5], v1, s[8:9] offset:40
	global_load_b64 v[8:9], v1, s[8:9]
	s_wait_loadcnt 0x1
	v_and_b32_e32 v4, v4, v6
	v_and_b32_e32 v5, v5, v7
	s_delay_alu instid0(VALU_DEP_1) | instskip(SKIP_1) | instid1(VALU_DEP_1)
	v_mul_u64_e32 v[4:5], 24, v[4:5]
	s_wait_loadcnt 0x0
	v_add_nc_u64_e32 v[4:5], v[8:9], v[4:5]
	global_load_b64 v[4:5], v[4:5], off scope:SCOPE_SYS
	s_wait_xcnt 0x0
	s_wait_loadcnt 0x0
	global_atomic_cmpswap_b64 v[4:5], v1, v[4:7], s[8:9] offset:24 th:TH_ATOMIC_RETURN scope:SCOPE_SYS
	s_wait_loadcnt 0x0
	global_inv scope:SCOPE_SYS
	s_wait_xcnt 0x0
	v_cmpx_ne_u64_e64 v[4:5], v[6:7]
	s_cbranch_execz .LBB5_329
; %bb.326:
	s_mov_b32 s11, 0
.LBB5_327:                              ; =>This Inner Loop Header: Depth=1
	s_sleep 1
	s_clause 0x1
	global_load_b64 v[8:9], v1, s[8:9] offset:40
	global_load_b64 v[10:11], v1, s[8:9]
	v_mov_b64_e32 v[6:7], v[4:5]
	s_wait_loadcnt 0x1
	s_delay_alu instid0(VALU_DEP_1) | instskip(NEXT) | instid1(VALU_DEP_2)
	v_and_b32_e32 v4, v8, v6
	v_and_b32_e32 v8, v9, v7
	s_wait_loadcnt 0x0
	s_delay_alu instid0(VALU_DEP_2) | instskip(NEXT) | instid1(VALU_DEP_1)
	v_mad_nc_u64_u32 v[4:5], v4, 24, v[10:11]
	v_mad_u32 v5, v8, 24, v5
	global_load_b64 v[4:5], v[4:5], off scope:SCOPE_SYS
	s_wait_xcnt 0x0
	s_wait_loadcnt 0x0
	global_atomic_cmpswap_b64 v[4:5], v1, v[4:7], s[8:9] offset:24 th:TH_ATOMIC_RETURN scope:SCOPE_SYS
	s_wait_loadcnt 0x0
	global_inv scope:SCOPE_SYS
	v_cmp_eq_u64_e32 vcc_lo, v[4:5], v[6:7]
	s_or_b32 s11, vcc_lo, s11
	s_wait_xcnt 0x0
	s_and_not1_b32 exec_lo, exec_lo, s11
	s_cbranch_execnz .LBB5_327
; %bb.328:
	s_or_b32 exec_lo, exec_lo, s11
.LBB5_329:
	s_delay_alu instid0(SALU_CYCLE_1)
	s_or_b32 exec_lo, exec_lo, s10
.LBB5_330:
	s_delay_alu instid0(SALU_CYCLE_1)
	s_or_b32 exec_lo, exec_lo, s3
	v_readfirstlane_b32 s10, v4
	v_mov_b32_e32 v1, 0
	v_readfirstlane_b32 s11, v5
	s_mov_b32 s3, exec_lo
	s_clause 0x1
	global_load_b64 v[10:11], v1, s[8:9] offset:40
	global_load_b128 v[6:9], v1, s[8:9]
	s_wait_loadcnt 0x1
	v_and_b32_e32 v4, s10, v10
	v_and_b32_e32 v5, s11, v11
	s_delay_alu instid0(VALU_DEP_1) | instskip(SKIP_1) | instid1(VALU_DEP_1)
	v_mul_u64_e32 v[10:11], 24, v[4:5]
	s_wait_loadcnt 0x0
	v_add_nc_u64_e32 v[10:11], v[6:7], v[10:11]
	s_wait_xcnt 0x0
	s_and_saveexec_b32 s12, s2
	s_cbranch_execz .LBB5_332
; %bb.331:
	v_mov_b64_e32 v[14:15], 0x100000002
	v_dual_mov_b32 v12, s3 :: v_dual_mov_b32 v13, v1
	global_store_b128 v[10:11], v[12:15], off offset:8
.LBB5_332:
	s_wait_xcnt 0x0
	s_or_b32 exec_lo, exec_lo, s12
	v_lshlrev_b64_e32 v[4:5], 12, v[4:5]
	s_mov_b32 s12, 0
	v_and_or_b32 v2, 0xffffff1f, v2, 32
	s_mov_b32 s13, s12
	s_mov_b32 s14, s12
	;; [unrolled: 1-line block ×3, first 2 shown]
	v_mov_b64_e32 v[12:13], s[12:13]
	v_add_nc_u64_e32 v[8:9], v[8:9], v[4:5]
	v_mov_b64_e32 v[14:15], s[14:15]
	v_dual_mov_b32 v4, v1 :: v_dual_mov_b32 v5, v1
	s_delay_alu instid0(VALU_DEP_3) | instskip(NEXT) | instid1(VALU_DEP_4)
	v_readfirstlane_b32 s16, v8
	v_readfirstlane_b32 s17, v9
	s_clause 0x3
	global_store_b128 v0, v[2:5], s[16:17]
	global_store_b128 v0, v[12:15], s[16:17] offset:16
	global_store_b128 v0, v[12:15], s[16:17] offset:32
	;; [unrolled: 1-line block ×3, first 2 shown]
	s_wait_xcnt 0x0
	s_and_saveexec_b32 s3, s2
	s_cbranch_execz .LBB5_340
; %bb.333:
	v_dual_mov_b32 v12, 0 :: v_dual_mov_b32 v15, s11
	s_mov_b32 s12, exec_lo
	s_clause 0x1
	global_load_b64 v[16:17], v12, s[8:9] offset:32 scope:SCOPE_SYS
	global_load_b64 v[2:3], v12, s[8:9] offset:40
	s_wait_loadcnt 0x0
	v_dual_mov_b32 v14, s10 :: v_dual_bitop2_b32 v3, s11, v3 bitop3:0x40
	v_and_b32_e32 v2, s10, v2
	s_delay_alu instid0(VALU_DEP_1) | instskip(NEXT) | instid1(VALU_DEP_1)
	v_mul_u64_e32 v[2:3], 24, v[2:3]
	v_add_nc_u64_e32 v[6:7], v[6:7], v[2:3]
	global_store_b64 v[6:7], v[16:17], off
	global_wb scope:SCOPE_SYS
	s_wait_storecnt 0x0
	s_wait_xcnt 0x0
	global_atomic_cmpswap_b64 v[4:5], v12, v[14:17], s[8:9] offset:32 th:TH_ATOMIC_RETURN scope:SCOPE_SYS
	s_wait_loadcnt 0x0
	v_cmpx_ne_u64_e64 v[4:5], v[16:17]
	s_cbranch_execz .LBB5_336
; %bb.334:
	s_mov_b32 s13, 0
.LBB5_335:                              ; =>This Inner Loop Header: Depth=1
	v_dual_mov_b32 v2, s10 :: v_dual_mov_b32 v3, s11
	s_sleep 1
	global_store_b64 v[6:7], v[4:5], off
	global_wb scope:SCOPE_SYS
	s_wait_storecnt 0x0
	s_wait_xcnt 0x0
	global_atomic_cmpswap_b64 v[2:3], v12, v[2:5], s[8:9] offset:32 th:TH_ATOMIC_RETURN scope:SCOPE_SYS
	s_wait_loadcnt 0x0
	v_cmp_eq_u64_e32 vcc_lo, v[2:3], v[4:5]
	v_mov_b64_e32 v[4:5], v[2:3]
	s_or_b32 s13, vcc_lo, s13
	s_delay_alu instid0(SALU_CYCLE_1)
	s_and_not1_b32 exec_lo, exec_lo, s13
	s_cbranch_execnz .LBB5_335
.LBB5_336:
	s_or_b32 exec_lo, exec_lo, s12
	v_mov_b32_e32 v5, 0
	s_mov_b32 s13, exec_lo
	s_mov_b32 s12, exec_lo
	v_mbcnt_lo_u32_b32 v4, s13, 0
	global_load_b64 v[2:3], v5, s[8:9] offset:16
	s_wait_xcnt 0x0
	v_cmpx_eq_u32_e32 0, v4
	s_cbranch_execz .LBB5_338
; %bb.337:
	s_bcnt1_i32_b32 s13, s13
	s_delay_alu instid0(SALU_CYCLE_1)
	v_mov_b32_e32 v4, s13
	global_wb scope:SCOPE_SYS
	s_wait_loadcnt 0x0
	s_wait_storecnt 0x0
	global_atomic_add_u64 v[2:3], v[4:5], off offset:8 scope:SCOPE_SYS
.LBB5_338:
	s_wait_xcnt 0x0
	s_or_b32 exec_lo, exec_lo, s12
	s_wait_loadcnt 0x0
	global_load_b64 v[4:5], v[2:3], off offset:16
	s_wait_loadcnt 0x0
	v_cmp_eq_u64_e32 vcc_lo, 0, v[4:5]
	s_cbranch_vccnz .LBB5_340
; %bb.339:
	global_load_b32 v2, v[2:3], off offset:24
	s_wait_xcnt 0x0
	v_mov_b32_e32 v3, 0
	s_wait_loadcnt 0x0
	v_readfirstlane_b32 s12, v2
	global_wb scope:SCOPE_SYS
	s_wait_storecnt 0x0
	global_store_b64 v[4:5], v[2:3], off scope:SCOPE_SYS
	s_and_b32 m0, s12, 0xffffff
	s_sendmsg sendmsg(MSG_INTERRUPT)
.LBB5_340:
	s_wait_xcnt 0x0
	s_or_b32 exec_lo, exec_lo, s3
	v_add_nc_u64_e32 v[2:3], v[8:9], v[0:1]
	s_branch .LBB5_344
.LBB5_341:                              ;   in Loop: Header=BB5_344 Depth=1
	s_wait_xcnt 0x0
	s_or_b32 exec_lo, exec_lo, s3
	s_delay_alu instid0(VALU_DEP_1)
	v_readfirstlane_b32 s3, v1
	s_cmp_eq_u32 s3, 0
	s_cbranch_scc1 .LBB5_343
; %bb.342:                              ;   in Loop: Header=BB5_344 Depth=1
	s_sleep 1
	s_cbranch_execnz .LBB5_344
	s_branch .LBB5_346
.LBB5_343:
	s_branch .LBB5_346
.LBB5_344:                              ; =>This Inner Loop Header: Depth=1
	v_mov_b32_e32 v1, 1
	s_and_saveexec_b32 s3, s2
	s_cbranch_execz .LBB5_341
; %bb.345:                              ;   in Loop: Header=BB5_344 Depth=1
	global_load_b32 v1, v[10:11], off offset:20 scope:SCOPE_SYS
	s_wait_loadcnt 0x0
	global_inv scope:SCOPE_SYS
	v_and_b32_e32 v1, 1, v1
	s_branch .LBB5_341
.LBB5_346:
	global_load_b64 v[4:5], v[2:3], off
	s_wait_xcnt 0x0
	s_and_saveexec_b32 s12, s2
	s_cbranch_execz .LBB5_350
; %bb.347:
	v_mov_b32_e32 v1, 0
	s_clause 0x2
	global_load_b64 v[2:3], v1, s[8:9] offset:40
	global_load_b64 v[10:11], v1, s[8:9] offset:24 scope:SCOPE_SYS
	global_load_b64 v[6:7], v1, s[8:9]
	s_wait_loadcnt 0x2
	v_readfirstlane_b32 s14, v2
	v_readfirstlane_b32 s15, v3
	s_add_nc_u64 s[2:3], s[14:15], 1
	s_delay_alu instid0(SALU_CYCLE_1) | instskip(NEXT) | instid1(SALU_CYCLE_1)
	s_add_nc_u64 s[10:11], s[2:3], s[10:11]
	s_cmp_eq_u64 s[10:11], 0
	s_cselect_b32 s3, s3, s11
	s_cselect_b32 s2, s2, s10
	v_mov_b32_e32 v9, s3
	s_and_b64 s[10:11], s[2:3], s[14:15]
	v_mov_b32_e32 v8, s2
	s_mul_u64 s[10:11], s[10:11], 24
	s_wait_loadcnt 0x0
	v_add_nc_u64_e32 v[2:3], s[10:11], v[6:7]
	global_store_b64 v[2:3], v[10:11], off
	global_wb scope:SCOPE_SYS
	s_wait_storecnt 0x0
	s_wait_xcnt 0x0
	global_atomic_cmpswap_b64 v[8:9], v1, v[8:11], s[8:9] offset:24 th:TH_ATOMIC_RETURN scope:SCOPE_SYS
	s_wait_loadcnt 0x0
	v_cmp_ne_u64_e32 vcc_lo, v[8:9], v[10:11]
	s_and_b32 exec_lo, exec_lo, vcc_lo
	s_cbranch_execz .LBB5_350
; %bb.348:
	s_mov_b32 s10, 0
.LBB5_349:                              ; =>This Inner Loop Header: Depth=1
	v_dual_mov_b32 v6, s2 :: v_dual_mov_b32 v7, s3
	s_sleep 1
	global_store_b64 v[2:3], v[8:9], off
	global_wb scope:SCOPE_SYS
	s_wait_storecnt 0x0
	s_wait_xcnt 0x0
	global_atomic_cmpswap_b64 v[6:7], v1, v[6:9], s[8:9] offset:24 th:TH_ATOMIC_RETURN scope:SCOPE_SYS
	s_wait_loadcnt 0x0
	v_cmp_eq_u64_e32 vcc_lo, v[6:7], v[8:9]
	v_mov_b64_e32 v[8:9], v[6:7]
	s_or_b32 s10, vcc_lo, s10
	s_delay_alu instid0(SALU_CYCLE_1)
	s_and_not1_b32 exec_lo, exec_lo, s10
	s_cbranch_execnz .LBB5_349
.LBB5_350:
	s_or_b32 exec_lo, exec_lo, s12
.LBB5_351:
	v_readfirstlane_b32 s2, v29
	s_wait_loadcnt 0x0
	v_mov_b64_e32 v[2:3], 0
	s_delay_alu instid0(VALU_DEP_2)
	v_cmp_eq_u32_e64 s2, s2, v29
	s_and_saveexec_b32 s3, s2
	s_cbranch_execz .LBB5_357
; %bb.352:
	v_mov_b32_e32 v1, 0
	s_mov_b32 s10, exec_lo
	global_load_b64 v[8:9], v1, s[8:9] offset:24 scope:SCOPE_SYS
	s_wait_loadcnt 0x0
	global_inv scope:SCOPE_SYS
	s_clause 0x1
	global_load_b64 v[2:3], v1, s[8:9] offset:40
	global_load_b64 v[6:7], v1, s[8:9]
	s_wait_loadcnt 0x1
	v_and_b32_e32 v2, v2, v8
	v_and_b32_e32 v3, v3, v9
	s_delay_alu instid0(VALU_DEP_1) | instskip(SKIP_1) | instid1(VALU_DEP_1)
	v_mul_u64_e32 v[2:3], 24, v[2:3]
	s_wait_loadcnt 0x0
	v_add_nc_u64_e32 v[2:3], v[6:7], v[2:3]
	global_load_b64 v[6:7], v[2:3], off scope:SCOPE_SYS
	s_wait_xcnt 0x0
	s_wait_loadcnt 0x0
	global_atomic_cmpswap_b64 v[2:3], v1, v[6:9], s[8:9] offset:24 th:TH_ATOMIC_RETURN scope:SCOPE_SYS
	s_wait_loadcnt 0x0
	global_inv scope:SCOPE_SYS
	s_wait_xcnt 0x0
	v_cmpx_ne_u64_e64 v[2:3], v[8:9]
	s_cbranch_execz .LBB5_356
; %bb.353:
	s_mov_b32 s11, 0
.LBB5_354:                              ; =>This Inner Loop Header: Depth=1
	s_sleep 1
	s_clause 0x1
	global_load_b64 v[6:7], v1, s[8:9] offset:40
	global_load_b64 v[10:11], v1, s[8:9]
	v_mov_b64_e32 v[8:9], v[2:3]
	s_wait_loadcnt 0x1
	s_delay_alu instid0(VALU_DEP_1) | instskip(NEXT) | instid1(VALU_DEP_2)
	v_and_b32_e32 v2, v6, v8
	v_and_b32_e32 v6, v7, v9
	s_wait_loadcnt 0x0
	s_delay_alu instid0(VALU_DEP_2) | instskip(NEXT) | instid1(VALU_DEP_1)
	v_mad_nc_u64_u32 v[2:3], v2, 24, v[10:11]
	v_mad_u32 v3, v6, 24, v3
	global_load_b64 v[6:7], v[2:3], off scope:SCOPE_SYS
	s_wait_xcnt 0x0
	s_wait_loadcnt 0x0
	global_atomic_cmpswap_b64 v[2:3], v1, v[6:9], s[8:9] offset:24 th:TH_ATOMIC_RETURN scope:SCOPE_SYS
	s_wait_loadcnt 0x0
	global_inv scope:SCOPE_SYS
	v_cmp_eq_u64_e32 vcc_lo, v[2:3], v[8:9]
	s_or_b32 s11, vcc_lo, s11
	s_wait_xcnt 0x0
	s_and_not1_b32 exec_lo, exec_lo, s11
	s_cbranch_execnz .LBB5_354
; %bb.355:
	s_or_b32 exec_lo, exec_lo, s11
.LBB5_356:
	s_delay_alu instid0(SALU_CYCLE_1)
	s_or_b32 exec_lo, exec_lo, s10
.LBB5_357:
	s_delay_alu instid0(SALU_CYCLE_1)
	s_or_b32 exec_lo, exec_lo, s3
	v_readfirstlane_b32 s10, v2
	v_mov_b32_e32 v1, 0
	v_readfirstlane_b32 s11, v3
	s_mov_b32 s3, exec_lo
	s_clause 0x1
	global_load_b64 v[6:7], v1, s[8:9] offset:40
	global_load_b128 v[8:11], v1, s[8:9]
	s_wait_loadcnt 0x1
	v_and_b32_e32 v2, s10, v6
	v_and_b32_e32 v3, s11, v7
	s_delay_alu instid0(VALU_DEP_1) | instskip(SKIP_1) | instid1(VALU_DEP_1)
	v_mul_u64_e32 v[6:7], 24, v[2:3]
	s_wait_loadcnt 0x0
	v_add_nc_u64_e32 v[12:13], v[8:9], v[6:7]
	s_wait_xcnt 0x0
	s_and_saveexec_b32 s12, s2
	s_cbranch_execz .LBB5_359
; %bb.358:
	v_mov_b64_e32 v[16:17], 0x100000002
	v_dual_mov_b32 v14, s3 :: v_dual_mov_b32 v15, v1
	global_store_b128 v[12:13], v[14:17], off offset:8
.LBB5_359:
	s_wait_xcnt 0x0
	s_or_b32 exec_lo, exec_lo, s12
	v_lshlrev_b64_e32 v[2:3], 12, v[2:3]
	s_mov_b32 s12, 0
	s_lshr_b32 s3, s22, 4
	s_mov_b32 s14, s12
	s_mov_b32 s15, s12
	;; [unrolled: 1-line block ×3, first 2 shown]
	v_mov_b64_e32 v[16:17], s[14:15]
	v_add_nc_u64_e32 v[10:11], v[10:11], v[2:3]
	v_mov_b64_e32 v[14:15], s[12:13]
	v_and_or_b32 v4, 0xffffff1f, v4, 32
	v_dual_mov_b32 v7, v1 :: v_dual_mov_b32 v6, s3
	s_delay_alu instid0(VALU_DEP_4)
	v_readfirstlane_b32 s16, v10
	v_readfirstlane_b32 s17, v11
	s_clause 0x3
	global_store_b128 v0, v[4:7], s[16:17]
	global_store_b128 v0, v[14:17], s[16:17] offset:16
	global_store_b128 v0, v[14:17], s[16:17] offset:32
	;; [unrolled: 1-line block ×3, first 2 shown]
	s_wait_xcnt 0x0
	s_and_saveexec_b32 s3, s2
	s_cbranch_execz .LBB5_367
; %bb.360:
	v_dual_mov_b32 v14, 0 :: v_dual_mov_b32 v17, s11
	s_mov_b32 s12, exec_lo
	s_clause 0x1
	global_load_b64 v[18:19], v14, s[8:9] offset:32 scope:SCOPE_SYS
	global_load_b64 v[2:3], v14, s[8:9] offset:40
	s_wait_loadcnt 0x0
	v_dual_mov_b32 v16, s10 :: v_dual_bitop2_b32 v3, s11, v3 bitop3:0x40
	v_and_b32_e32 v2, s10, v2
	s_delay_alu instid0(VALU_DEP_1) | instskip(NEXT) | instid1(VALU_DEP_1)
	v_mul_u64_e32 v[2:3], 24, v[2:3]
	v_add_nc_u64_e32 v[6:7], v[8:9], v[2:3]
	global_store_b64 v[6:7], v[18:19], off
	global_wb scope:SCOPE_SYS
	s_wait_storecnt 0x0
	s_wait_xcnt 0x0
	global_atomic_cmpswap_b64 v[4:5], v14, v[16:19], s[8:9] offset:32 th:TH_ATOMIC_RETURN scope:SCOPE_SYS
	s_wait_loadcnt 0x0
	v_cmpx_ne_u64_e64 v[4:5], v[18:19]
	s_cbranch_execz .LBB5_363
; %bb.361:
	s_mov_b32 s13, 0
.LBB5_362:                              ; =>This Inner Loop Header: Depth=1
	v_dual_mov_b32 v2, s10 :: v_dual_mov_b32 v3, s11
	s_sleep 1
	global_store_b64 v[6:7], v[4:5], off
	global_wb scope:SCOPE_SYS
	s_wait_storecnt 0x0
	s_wait_xcnt 0x0
	global_atomic_cmpswap_b64 v[2:3], v14, v[2:5], s[8:9] offset:32 th:TH_ATOMIC_RETURN scope:SCOPE_SYS
	s_wait_loadcnt 0x0
	v_cmp_eq_u64_e32 vcc_lo, v[2:3], v[4:5]
	v_mov_b64_e32 v[4:5], v[2:3]
	s_or_b32 s13, vcc_lo, s13
	s_delay_alu instid0(SALU_CYCLE_1)
	s_and_not1_b32 exec_lo, exec_lo, s13
	s_cbranch_execnz .LBB5_362
.LBB5_363:
	s_or_b32 exec_lo, exec_lo, s12
	v_mov_b32_e32 v5, 0
	s_mov_b32 s13, exec_lo
	s_mov_b32 s12, exec_lo
	v_mbcnt_lo_u32_b32 v4, s13, 0
	global_load_b64 v[2:3], v5, s[8:9] offset:16
	s_wait_xcnt 0x0
	v_cmpx_eq_u32_e32 0, v4
	s_cbranch_execz .LBB5_365
; %bb.364:
	s_bcnt1_i32_b32 s13, s13
	s_delay_alu instid0(SALU_CYCLE_1)
	v_mov_b32_e32 v4, s13
	global_wb scope:SCOPE_SYS
	s_wait_loadcnt 0x0
	s_wait_storecnt 0x0
	global_atomic_add_u64 v[2:3], v[4:5], off offset:8 scope:SCOPE_SYS
.LBB5_365:
	s_wait_xcnt 0x0
	s_or_b32 exec_lo, exec_lo, s12
	s_wait_loadcnt 0x0
	global_load_b64 v[4:5], v[2:3], off offset:16
	s_wait_loadcnt 0x0
	v_cmp_eq_u64_e32 vcc_lo, 0, v[4:5]
	s_cbranch_vccnz .LBB5_367
; %bb.366:
	global_load_b32 v2, v[2:3], off offset:24
	s_wait_xcnt 0x0
	v_mov_b32_e32 v3, 0
	s_wait_loadcnt 0x0
	v_readfirstlane_b32 s12, v2
	global_wb scope:SCOPE_SYS
	s_wait_storecnt 0x0
	global_store_b64 v[4:5], v[2:3], off scope:SCOPE_SYS
	s_and_b32 m0, s12, 0xffffff
	s_sendmsg sendmsg(MSG_INTERRUPT)
.LBB5_367:
	s_wait_xcnt 0x0
	s_or_b32 exec_lo, exec_lo, s3
	v_add_nc_u64_e32 v[2:3], v[10:11], v[0:1]
	s_branch .LBB5_371
.LBB5_368:                              ;   in Loop: Header=BB5_371 Depth=1
	s_wait_xcnt 0x0
	s_or_b32 exec_lo, exec_lo, s3
	s_delay_alu instid0(VALU_DEP_1)
	v_readfirstlane_b32 s3, v1
	s_cmp_eq_u32 s3, 0
	s_cbranch_scc1 .LBB5_370
; %bb.369:                              ;   in Loop: Header=BB5_371 Depth=1
	s_sleep 1
	s_cbranch_execnz .LBB5_371
	s_branch .LBB5_373
.LBB5_370:
	s_branch .LBB5_373
.LBB5_371:                              ; =>This Inner Loop Header: Depth=1
	v_mov_b32_e32 v1, 1
	s_and_saveexec_b32 s3, s2
	s_cbranch_execz .LBB5_368
; %bb.372:                              ;   in Loop: Header=BB5_371 Depth=1
	global_load_b32 v1, v[12:13], off offset:20 scope:SCOPE_SYS
	s_wait_loadcnt 0x0
	global_inv scope:SCOPE_SYS
	v_and_b32_e32 v1, 1, v1
	s_branch .LBB5_368
.LBB5_373:
	global_load_b64 v[2:3], v[2:3], off
	s_wait_xcnt 0x0
	s_and_saveexec_b32 s12, s2
	s_cbranch_execz .LBB5_377
; %bb.374:
	v_mov_b32_e32 v1, 0
	s_clause 0x2
	global_load_b64 v[4:5], v1, s[8:9] offset:40
	global_load_b64 v[12:13], v1, s[8:9] offset:24 scope:SCOPE_SYS
	global_load_b64 v[6:7], v1, s[8:9]
	s_wait_loadcnt 0x2
	v_readfirstlane_b32 s14, v4
	v_readfirstlane_b32 s15, v5
	s_add_nc_u64 s[2:3], s[14:15], 1
	s_delay_alu instid0(SALU_CYCLE_1) | instskip(NEXT) | instid1(SALU_CYCLE_1)
	s_add_nc_u64 s[10:11], s[2:3], s[10:11]
	s_cmp_eq_u64 s[10:11], 0
	s_cselect_b32 s3, s3, s11
	s_cselect_b32 s2, s2, s10
	v_mov_b32_e32 v11, s3
	s_and_b64 s[10:11], s[2:3], s[14:15]
	v_mov_b32_e32 v10, s2
	s_mul_u64 s[10:11], s[10:11], 24
	s_wait_loadcnt 0x0
	v_add_nc_u64_e32 v[8:9], s[10:11], v[6:7]
	global_store_b64 v[8:9], v[12:13], off
	global_wb scope:SCOPE_SYS
	s_wait_storecnt 0x0
	s_wait_xcnt 0x0
	global_atomic_cmpswap_b64 v[6:7], v1, v[10:13], s[8:9] offset:24 th:TH_ATOMIC_RETURN scope:SCOPE_SYS
	s_wait_loadcnt 0x0
	v_cmp_ne_u64_e32 vcc_lo, v[6:7], v[12:13]
	s_and_b32 exec_lo, exec_lo, vcc_lo
	s_cbranch_execz .LBB5_377
; %bb.375:
	s_mov_b32 s10, 0
.LBB5_376:                              ; =>This Inner Loop Header: Depth=1
	v_dual_mov_b32 v4, s2 :: v_dual_mov_b32 v5, s3
	s_sleep 1
	global_store_b64 v[8:9], v[6:7], off
	global_wb scope:SCOPE_SYS
	s_wait_storecnt 0x0
	s_wait_xcnt 0x0
	global_atomic_cmpswap_b64 v[4:5], v1, v[4:7], s[8:9] offset:24 th:TH_ATOMIC_RETURN scope:SCOPE_SYS
	s_wait_loadcnt 0x0
	v_cmp_eq_u64_e32 vcc_lo, v[4:5], v[6:7]
	v_mov_b64_e32 v[6:7], v[4:5]
	s_or_b32 s10, vcc_lo, s10
	s_delay_alu instid0(SALU_CYCLE_1)
	s_and_not1_b32 exec_lo, exec_lo, s10
	s_cbranch_execnz .LBB5_376
.LBB5_377:
	s_or_b32 exec_lo, exec_lo, s12
	v_readfirstlane_b32 s2, v29
	v_mov_b64_e32 v[10:11], 0
	s_delay_alu instid0(VALU_DEP_2)
	v_cmp_eq_u32_e64 s2, s2, v29
	s_and_saveexec_b32 s3, s2
	s_cbranch_execz .LBB5_383
; %bb.378:
	v_mov_b32_e32 v1, 0
	s_mov_b32 s10, exec_lo
	global_load_b64 v[6:7], v1, s[8:9] offset:24 scope:SCOPE_SYS
	s_wait_loadcnt 0x0
	global_inv scope:SCOPE_SYS
	s_clause 0x1
	global_load_b64 v[4:5], v1, s[8:9] offset:40
	global_load_b64 v[8:9], v1, s[8:9]
	s_wait_loadcnt 0x1
	v_and_b32_e32 v4, v4, v6
	v_and_b32_e32 v5, v5, v7
	s_delay_alu instid0(VALU_DEP_1) | instskip(SKIP_1) | instid1(VALU_DEP_1)
	v_mul_u64_e32 v[4:5], 24, v[4:5]
	s_wait_loadcnt 0x0
	v_add_nc_u64_e32 v[4:5], v[8:9], v[4:5]
	global_load_b64 v[4:5], v[4:5], off scope:SCOPE_SYS
	s_wait_xcnt 0x0
	s_wait_loadcnt 0x0
	global_atomic_cmpswap_b64 v[10:11], v1, v[4:7], s[8:9] offset:24 th:TH_ATOMIC_RETURN scope:SCOPE_SYS
	s_wait_loadcnt 0x0
	global_inv scope:SCOPE_SYS
	s_wait_xcnt 0x0
	v_cmpx_ne_u64_e64 v[10:11], v[6:7]
	s_cbranch_execz .LBB5_382
; %bb.379:
	s_mov_b32 s11, 0
.LBB5_380:                              ; =>This Inner Loop Header: Depth=1
	s_sleep 1
	s_clause 0x1
	global_load_b64 v[4:5], v1, s[8:9] offset:40
	global_load_b64 v[8:9], v1, s[8:9]
	v_mov_b64_e32 v[6:7], v[10:11]
	s_wait_loadcnt 0x1
	s_delay_alu instid0(VALU_DEP_1) | instskip(SKIP_1) | instid1(VALU_DEP_1)
	v_and_b32_e32 v4, v4, v6
	s_wait_loadcnt 0x0
	v_mad_nc_u64_u32 v[8:9], v4, 24, v[8:9]
	s_delay_alu instid0(VALU_DEP_3) | instskip(NEXT) | instid1(VALU_DEP_1)
	v_and_b32_e32 v4, v5, v7
	v_mad_u32 v9, v4, 24, v9
	global_load_b64 v[4:5], v[8:9], off scope:SCOPE_SYS
	s_wait_xcnt 0x0
	s_wait_loadcnt 0x0
	global_atomic_cmpswap_b64 v[10:11], v1, v[4:7], s[8:9] offset:24 th:TH_ATOMIC_RETURN scope:SCOPE_SYS
	s_wait_loadcnt 0x0
	global_inv scope:SCOPE_SYS
	v_cmp_eq_u64_e32 vcc_lo, v[10:11], v[6:7]
	s_or_b32 s11, vcc_lo, s11
	s_wait_xcnt 0x0
	s_and_not1_b32 exec_lo, exec_lo, s11
	s_cbranch_execnz .LBB5_380
; %bb.381:
	s_or_b32 exec_lo, exec_lo, s11
.LBB5_382:
	s_delay_alu instid0(SALU_CYCLE_1)
	s_or_b32 exec_lo, exec_lo, s10
.LBB5_383:
	s_delay_alu instid0(SALU_CYCLE_1)
	s_or_b32 exec_lo, exec_lo, s3
	v_readfirstlane_b32 s10, v10
	v_mov_b32_e32 v5, 0
	v_readfirstlane_b32 s11, v11
	s_mov_b32 s3, exec_lo
	s_clause 0x1
	global_load_b64 v[12:13], v5, s[8:9] offset:40
	global_load_b128 v[6:9], v5, s[8:9]
	s_wait_loadcnt 0x1
	v_and_b32_e32 v12, s10, v12
	v_and_b32_e32 v13, s11, v13
	s_delay_alu instid0(VALU_DEP_1) | instskip(SKIP_1) | instid1(VALU_DEP_1)
	v_mul_u64_e32 v[10:11], 24, v[12:13]
	s_wait_loadcnt 0x0
	v_add_nc_u64_e32 v[10:11], v[6:7], v[10:11]
	s_wait_xcnt 0x0
	s_and_saveexec_b32 s12, s2
	s_cbranch_execz .LBB5_385
; %bb.384:
	v_mov_b32_e32 v4, s3
	v_mov_b64_e32 v[16:17], 0x100000002
	s_delay_alu instid0(VALU_DEP_2)
	v_mov_b64_e32 v[14:15], v[4:5]
	global_store_b128 v[10:11], v[14:17], off offset:8
.LBB5_385:
	s_wait_xcnt 0x0
	s_or_b32 exec_lo, exec_lo, s12
	v_lshlrev_b64_e32 v[12:13], 12, v[12:13]
	s_mov_b32 s12, 0
	v_and_or_b32 v2, 0xffffff1d, v2, 34
	s_mov_b32 s13, s12
	s_mov_b32 s14, s12
	;; [unrolled: 1-line block ×3, first 2 shown]
	v_mov_b32_e32 v4, 16
	v_add_nc_u64_e32 v[8:9], v[8:9], v[12:13]
	v_mov_b64_e32 v[12:13], s[12:13]
	v_mov_b64_e32 v[14:15], s[14:15]
	s_delay_alu instid0(VALU_DEP_3) | instskip(NEXT) | instid1(VALU_DEP_4)
	v_readfirstlane_b32 s16, v8
	v_readfirstlane_b32 s17, v9
	s_clause 0x3
	global_store_b128 v0, v[2:5], s[16:17]
	global_store_b128 v0, v[12:15], s[16:17] offset:16
	global_store_b128 v0, v[12:15], s[16:17] offset:32
	;; [unrolled: 1-line block ×3, first 2 shown]
	s_wait_xcnt 0x0
	s_and_saveexec_b32 s3, s2
	s_cbranch_execz .LBB5_393
; %bb.386:
	v_dual_mov_b32 v8, 0 :: v_dual_mov_b32 v13, s11
	s_mov_b32 s12, exec_lo
	s_clause 0x1
	global_load_b64 v[14:15], v8, s[8:9] offset:32 scope:SCOPE_SYS
	global_load_b64 v[0:1], v8, s[8:9] offset:40
	s_wait_loadcnt 0x0
	v_dual_mov_b32 v12, s10 :: v_dual_bitop2_b32 v1, s11, v1 bitop3:0x40
	v_and_b32_e32 v0, s10, v0
	s_delay_alu instid0(VALU_DEP_1) | instskip(NEXT) | instid1(VALU_DEP_1)
	v_mul_u64_e32 v[0:1], 24, v[0:1]
	v_add_nc_u64_e32 v[4:5], v[6:7], v[0:1]
	global_store_b64 v[4:5], v[14:15], off
	global_wb scope:SCOPE_SYS
	s_wait_storecnt 0x0
	s_wait_xcnt 0x0
	global_atomic_cmpswap_b64 v[2:3], v8, v[12:15], s[8:9] offset:32 th:TH_ATOMIC_RETURN scope:SCOPE_SYS
	s_wait_loadcnt 0x0
	v_cmpx_ne_u64_e64 v[2:3], v[14:15]
	s_cbranch_execz .LBB5_389
; %bb.387:
	s_mov_b32 s13, 0
.LBB5_388:                              ; =>This Inner Loop Header: Depth=1
	v_dual_mov_b32 v0, s10 :: v_dual_mov_b32 v1, s11
	s_sleep 1
	global_store_b64 v[4:5], v[2:3], off
	global_wb scope:SCOPE_SYS
	s_wait_storecnt 0x0
	s_wait_xcnt 0x0
	global_atomic_cmpswap_b64 v[0:1], v8, v[0:3], s[8:9] offset:32 th:TH_ATOMIC_RETURN scope:SCOPE_SYS
	s_wait_loadcnt 0x0
	v_cmp_eq_u64_e32 vcc_lo, v[0:1], v[2:3]
	v_mov_b64_e32 v[2:3], v[0:1]
	s_or_b32 s13, vcc_lo, s13
	s_delay_alu instid0(SALU_CYCLE_1)
	s_and_not1_b32 exec_lo, exec_lo, s13
	s_cbranch_execnz .LBB5_388
.LBB5_389:
	s_or_b32 exec_lo, exec_lo, s12
	v_mov_b32_e32 v3, 0
	s_mov_b32 s13, exec_lo
	s_mov_b32 s12, exec_lo
	v_mbcnt_lo_u32_b32 v2, s13, 0
	global_load_b64 v[0:1], v3, s[8:9] offset:16
	s_wait_xcnt 0x0
	v_cmpx_eq_u32_e32 0, v2
	s_cbranch_execz .LBB5_391
; %bb.390:
	s_bcnt1_i32_b32 s13, s13
	s_delay_alu instid0(SALU_CYCLE_1)
	v_mov_b32_e32 v2, s13
	global_wb scope:SCOPE_SYS
	s_wait_loadcnt 0x0
	s_wait_storecnt 0x0
	global_atomic_add_u64 v[0:1], v[2:3], off offset:8 scope:SCOPE_SYS
.LBB5_391:
	s_wait_xcnt 0x0
	s_or_b32 exec_lo, exec_lo, s12
	s_wait_loadcnt 0x0
	global_load_b64 v[2:3], v[0:1], off offset:16
	s_wait_loadcnt 0x0
	v_cmp_eq_u64_e32 vcc_lo, 0, v[2:3]
	s_cbranch_vccnz .LBB5_393
; %bb.392:
	global_load_b32 v0, v[0:1], off offset:24
	s_wait_xcnt 0x0
	v_mov_b32_e32 v1, 0
	s_wait_loadcnt 0x0
	v_readfirstlane_b32 s12, v0
	global_wb scope:SCOPE_SYS
	s_wait_storecnt 0x0
	global_store_b64 v[2:3], v[0:1], off scope:SCOPE_SYS
	s_and_b32 m0, s12, 0xffffff
	s_sendmsg sendmsg(MSG_INTERRUPT)
.LBB5_393:
	s_wait_xcnt 0x0
	s_or_b32 exec_lo, exec_lo, s3
	s_branch .LBB5_397
.LBB5_394:                              ;   in Loop: Header=BB5_397 Depth=1
	s_wait_xcnt 0x0
	s_or_b32 exec_lo, exec_lo, s3
	s_delay_alu instid0(VALU_DEP_1)
	v_readfirstlane_b32 s3, v0
	s_cmp_eq_u32 s3, 0
	s_cbranch_scc1 .LBB5_396
; %bb.395:                              ;   in Loop: Header=BB5_397 Depth=1
	s_sleep 1
	s_cbranch_execnz .LBB5_397
	s_branch .LBB5_399
.LBB5_396:
	s_branch .LBB5_399
.LBB5_397:                              ; =>This Inner Loop Header: Depth=1
	v_mov_b32_e32 v0, 1
	s_and_saveexec_b32 s3, s2
	s_cbranch_execz .LBB5_394
; %bb.398:                              ;   in Loop: Header=BB5_397 Depth=1
	global_load_b32 v0, v[10:11], off offset:20 scope:SCOPE_SYS
	s_wait_loadcnt 0x0
	global_inv scope:SCOPE_SYS
	v_and_b32_e32 v0, 1, v0
	s_branch .LBB5_394
.LBB5_399:
	s_and_b32 exec_lo, exec_lo, s2
	s_cbranch_execz .LBB5_403
; %bb.400:
	v_mov_b32_e32 v6, 0
	s_clause 0x2
	global_load_b64 v[0:1], v6, s[8:9] offset:40
	global_load_b64 v[10:11], v6, s[8:9] offset:24 scope:SCOPE_SYS
	global_load_b64 v[2:3], v6, s[8:9]
	s_wait_loadcnt 0x2
	v_readfirstlane_b32 s12, v0
	v_readfirstlane_b32 s13, v1
	s_add_nc_u64 s[2:3], s[12:13], 1
	s_delay_alu instid0(SALU_CYCLE_1) | instskip(NEXT) | instid1(SALU_CYCLE_1)
	s_add_nc_u64 s[10:11], s[2:3], s[10:11]
	s_cmp_eq_u64 s[10:11], 0
	s_cselect_b32 s3, s3, s11
	s_cselect_b32 s2, s2, s10
	v_mov_b32_e32 v9, s3
	s_and_b64 s[10:11], s[2:3], s[12:13]
	v_mov_b32_e32 v8, s2
	s_mul_u64 s[10:11], s[10:11], 24
	s_wait_loadcnt 0x0
	v_add_nc_u64_e32 v[4:5], s[10:11], v[2:3]
	global_store_b64 v[4:5], v[10:11], off
	global_wb scope:SCOPE_SYS
	s_wait_storecnt 0x0
	s_wait_xcnt 0x0
	global_atomic_cmpswap_b64 v[2:3], v6, v[8:11], s[8:9] offset:24 th:TH_ATOMIC_RETURN scope:SCOPE_SYS
	s_wait_loadcnt 0x0
	v_cmp_ne_u64_e32 vcc_lo, v[2:3], v[10:11]
	s_and_b32 exec_lo, exec_lo, vcc_lo
	s_cbranch_execz .LBB5_403
; %bb.401:
	s_mov_b32 s10, 0
.LBB5_402:                              ; =>This Inner Loop Header: Depth=1
	v_dual_mov_b32 v0, s2 :: v_dual_mov_b32 v1, s3
	s_sleep 1
	global_store_b64 v[4:5], v[2:3], off
	global_wb scope:SCOPE_SYS
	s_wait_storecnt 0x0
	s_wait_xcnt 0x0
	global_atomic_cmpswap_b64 v[0:1], v6, v[0:3], s[8:9] offset:24 th:TH_ATOMIC_RETURN scope:SCOPE_SYS
	s_wait_loadcnt 0x0
	v_cmp_eq_u64_e32 vcc_lo, v[0:1], v[2:3]
	v_mov_b64_e32 v[2:3], v[0:1]
	s_or_b32 s10, vcc_lo, s10
	s_delay_alu instid0(SALU_CYCLE_1)
	s_and_not1_b32 exec_lo, exec_lo, s10
	s_cbranch_execnz .LBB5_402
.LBB5_403:
	s_or_b32 exec_lo, exec_lo, s23
	v_dual_mov_b32 v3, 0 :: v_dual_bitop2_b32 v0, -16, v28 bitop3:0x40
	v_dual_mov_b32 v31, v28 :: v_dual_bitop2_b32 v4, 15, v28 bitop3:0x40
	s_mov_b32 s2, exec_lo
	s_delay_alu instid0(VALU_DEP_2)
	v_ashrrev_i32_e32 v1, 31, v0
	s_wait_loadcnt 0x0
	s_wait_storecnt 0x0
	v_lshlrev_b32_e32 v2, 2, v4
	s_barrier_signal -1
	s_barrier_wait -1
	v_lshl_add_u64 v[0:1], v[0:1], 2, s[6:7]
	s_delay_alu instid0(VALU_DEP_1)
	v_add_nc_u64_e32 v[2:3], v[0:1], v[2:3]
	flat_store_b32 v[2:3], v28
	global_wb scope:SCOPE_DEV
	s_wait_storecnt_dscnt 0x0
	global_inv scope:SCOPE_DEV
	s_wait_xcnt 0x0
	v_cmpx_gt_u32_e32 8, v4
	s_cbranch_execz .LBB5_405
; %bb.404:
	flat_load_b32 v5, v[2:3] offset:32
	s_wait_loadcnt_dscnt 0x0
	v_add_nc_u32_e32 v31, v5, v28
.LBB5_405:
	s_or_b32 exec_lo, exec_lo, s2
	s_delay_alu instid0(SALU_CYCLE_1)
	s_mov_b32 s2, exec_lo
	global_wb scope:SCOPE_DEV
	s_wait_loadcnt 0x0
	s_wait_storecnt 0x0
	global_inv scope:SCOPE_DEV
	flat_store_b32 v[2:3], v31
	global_wb scope:SCOPE_DEV
	s_wait_storecnt 0x0
	s_wait_loadcnt_dscnt 0x0
	global_inv scope:SCOPE_DEV
	v_cmpx_gt_u32_e32 4, v4
	s_cbranch_execz .LBB5_407
; %bb.406:
	flat_load_b32 v5, v[2:3] offset:16
	s_wait_loadcnt_dscnt 0x0
	v_add_nc_u32_e32 v31, v5, v31
.LBB5_407:
	s_or_b32 exec_lo, exec_lo, s2
	s_delay_alu instid0(SALU_CYCLE_1)
	s_mov_b32 s2, exec_lo
	global_wb scope:SCOPE_DEV
	s_wait_loadcnt 0x0
	s_wait_storecnt 0x0
	global_inv scope:SCOPE_DEV
	flat_store_b32 v[2:3], v31
	global_wb scope:SCOPE_DEV
	s_wait_storecnt 0x0
	s_wait_loadcnt_dscnt 0x0
	global_inv scope:SCOPE_DEV
	v_cmpx_gt_u32_e32 2, v4
	s_cbranch_execz .LBB5_409
; %bb.408:
	flat_load_b32 v5, v[2:3] offset:8
	s_wait_loadcnt_dscnt 0x0
	v_add_nc_u32_e32 v31, v5, v31
.LBB5_409:
	s_or_b32 exec_lo, exec_lo, s2
	v_cmp_eq_u32_e64 s2, 0, v4
	global_wb scope:SCOPE_DEV
	s_wait_loadcnt 0x0
	s_wait_storecnt 0x0
	global_inv scope:SCOPE_DEV
	flat_store_b32 v[2:3], v31
	global_wb scope:SCOPE_DEV
	s_wait_storecnt 0x0
	s_wait_loadcnt_dscnt 0x0
	global_inv scope:SCOPE_DEV
	s_and_saveexec_b32 s3, s2
	s_cbranch_execnz .LBB5_412
; %bb.410:
	s_or_b32 exec_lo, exec_lo, s3
	global_wb scope:SCOPE_DEV
	s_wait_loadcnt 0x0
	s_wait_storecnt 0x0
	global_inv scope:SCOPE_DEV
	s_and_saveexec_b32 s3, s2
	s_cbranch_execnz .LBB5_413
.LBB5_411:
	s_endpgm
.LBB5_412:
	flat_load_b32 v0, v[0:1] offset:4
	s_wait_loadcnt_dscnt 0x0
	v_add_nc_u32_e32 v31, v0, v31
	s_or_b32 exec_lo, exec_lo, s3
	global_wb scope:SCOPE_DEV
	s_wait_storecnt 0x0
	global_inv scope:SCOPE_DEV
	s_and_saveexec_b32 s3, s2
	s_cbranch_execz .LBB5_411
.LBB5_413:
	s_load_b64 s[4:5], s[4:5], 0x50
	v_mbcnt_lo_u32_b32 v29, -1, 0
	v_mov_b64_e32 v[2:3], 0
	s_delay_alu instid0(VALU_DEP_2) | instskip(NEXT) | instid1(VALU_DEP_1)
	v_readfirstlane_b32 s3, v29
	v_cmp_eq_u32_e64 s3, s3, v29
	s_and_saveexec_b32 s6, s3
	s_cbranch_execz .LBB5_419
; %bb.414:
	v_mov_b32_e32 v0, 0
	s_mov_b32 s7, exec_lo
	s_wait_kmcnt 0x0
	global_load_b64 v[4:5], v0, s[4:5] offset:24 scope:SCOPE_SYS
	s_wait_loadcnt 0x0
	global_inv scope:SCOPE_SYS
	s_clause 0x1
	global_load_b64 v[2:3], v0, s[4:5] offset:40
	global_load_b64 v[6:7], v0, s[4:5]
	s_wait_loadcnt 0x1
	v_and_b32_e32 v2, v2, v4
	v_and_b32_e32 v3, v3, v5
	s_delay_alu instid0(VALU_DEP_1) | instskip(SKIP_1) | instid1(VALU_DEP_1)
	v_mul_u64_e32 v[2:3], 24, v[2:3]
	s_wait_loadcnt 0x0
	v_add_nc_u64_e32 v[2:3], v[6:7], v[2:3]
	global_load_b64 v[2:3], v[2:3], off scope:SCOPE_SYS
	s_wait_xcnt 0x0
	s_wait_loadcnt 0x0
	global_atomic_cmpswap_b64 v[2:3], v0, v[2:5], s[4:5] offset:24 th:TH_ATOMIC_RETURN scope:SCOPE_SYS
	s_wait_loadcnt 0x0
	global_inv scope:SCOPE_SYS
	s_wait_xcnt 0x0
	v_cmpx_ne_u64_e64 v[2:3], v[4:5]
	s_cbranch_execz .LBB5_418
; %bb.415:
	s_mov_b32 s8, 0
.LBB5_416:                              ; =>This Inner Loop Header: Depth=1
	s_sleep 1
	s_clause 0x1
	global_load_b64 v[6:7], v0, s[4:5] offset:40
	global_load_b64 v[8:9], v0, s[4:5]
	v_mov_b64_e32 v[4:5], v[2:3]
	s_wait_loadcnt 0x1
	s_delay_alu instid0(VALU_DEP_1) | instskip(SKIP_1) | instid1(VALU_DEP_1)
	v_and_b32_e32 v1, v6, v4
	s_wait_loadcnt 0x0
	v_mad_nc_u64_u32 v[2:3], v1, 24, v[8:9]
	s_delay_alu instid0(VALU_DEP_3) | instskip(NEXT) | instid1(VALU_DEP_1)
	v_and_b32_e32 v1, v7, v5
	v_mad_u32 v3, v1, 24, v3
	global_load_b64 v[2:3], v[2:3], off scope:SCOPE_SYS
	s_wait_xcnt 0x0
	s_wait_loadcnt 0x0
	global_atomic_cmpswap_b64 v[2:3], v0, v[2:5], s[4:5] offset:24 th:TH_ATOMIC_RETURN scope:SCOPE_SYS
	s_wait_loadcnt 0x0
	global_inv scope:SCOPE_SYS
	v_cmp_eq_u64_e32 vcc_lo, v[2:3], v[4:5]
	s_or_b32 s8, vcc_lo, s8
	s_wait_xcnt 0x0
	s_and_not1_b32 exec_lo, exec_lo, s8
	s_cbranch_execnz .LBB5_416
; %bb.417:
	s_or_b32 exec_lo, exec_lo, s8
.LBB5_418:
	s_delay_alu instid0(SALU_CYCLE_1)
	s_or_b32 exec_lo, exec_lo, s7
.LBB5_419:
	s_delay_alu instid0(SALU_CYCLE_1)
	s_or_b32 exec_lo, exec_lo, s6
	v_readfirstlane_b32 s6, v2
	v_mov_b32_e32 v1, 0
	v_readfirstlane_b32 s7, v3
	s_mov_b32 s8, exec_lo
	s_wait_kmcnt 0x0
	s_clause 0x1
	global_load_b64 v[8:9], v1, s[4:5] offset:40
	global_load_b128 v[4:7], v1, s[4:5]
	s_wait_loadcnt 0x1
	v_and_b32_e32 v10, s6, v8
	v_and_b32_e32 v11, s7, v9
	s_delay_alu instid0(VALU_DEP_1) | instskip(SKIP_1) | instid1(VALU_DEP_1)
	v_mul_u64_e32 v[2:3], 24, v[10:11]
	s_wait_loadcnt 0x0
	v_add_nc_u64_e32 v[8:9], v[4:5], v[2:3]
	s_and_saveexec_b32 s9, s3
	s_cbranch_execz .LBB5_421
; %bb.420:
	v_mov_b64_e32 v[2:3], 0x100000002
	v_mov_b32_e32 v0, s8
	global_store_b128 v[8:9], v[0:3], off offset:8
.LBB5_421:
	s_wait_xcnt 0x0
	s_or_b32 exec_lo, exec_lo, s9
	v_lshlrev_b64_e32 v[2:3], 12, v[10:11]
	s_mov_b32 s8, 0
	v_dual_lshlrev_b32 v0, 6, v29 :: v_dual_mov_b32 v10, 33
	s_mov_b32 s10, s8
	s_mov_b32 s11, s8
	;; [unrolled: 1-line block ×3, first 2 shown]
	s_delay_alu instid0(VALU_DEP_2)
	v_add_nc_u64_e32 v[6:7], v[6:7], v[2:3]
	v_mov_b64_e32 v[16:17], s[10:11]
	v_mov_b64_e32 v[14:15], s[8:9]
	v_dual_mov_b32 v11, v1 :: v_dual_mov_b32 v12, v1
	v_mov_b32_e32 v13, v1
	v_readfirstlane_b32 s12, v6
	v_readfirstlane_b32 s13, v7
	s_clause 0x3
	global_store_b128 v0, v[10:13], s[12:13]
	global_store_b128 v0, v[14:17], s[12:13] offset:16
	global_store_b128 v0, v[14:17], s[12:13] offset:32
	;; [unrolled: 1-line block ×3, first 2 shown]
	s_wait_xcnt 0x0
	s_and_saveexec_b32 s8, s3
	s_cbranch_execz .LBB5_429
; %bb.422:
	v_dual_mov_b32 v12, 0 :: v_dual_mov_b32 v15, s7
	s_mov_b32 s9, exec_lo
	s_clause 0x1
	global_load_b64 v[16:17], v12, s[4:5] offset:32 scope:SCOPE_SYS
	global_load_b64 v[2:3], v12, s[4:5] offset:40
	s_wait_loadcnt 0x0
	v_dual_mov_b32 v14, s6 :: v_dual_bitop2_b32 v3, s7, v3 bitop3:0x40
	v_and_b32_e32 v2, s6, v2
	s_delay_alu instid0(VALU_DEP_1) | instskip(NEXT) | instid1(VALU_DEP_1)
	v_mul_u64_e32 v[2:3], 24, v[2:3]
	v_add_nc_u64_e32 v[10:11], v[4:5], v[2:3]
	global_store_b64 v[10:11], v[16:17], off
	global_wb scope:SCOPE_SYS
	s_wait_storecnt 0x0
	s_wait_xcnt 0x0
	global_atomic_cmpswap_b64 v[4:5], v12, v[14:17], s[4:5] offset:32 th:TH_ATOMIC_RETURN scope:SCOPE_SYS
	s_wait_loadcnt 0x0
	v_cmpx_ne_u64_e64 v[4:5], v[16:17]
	s_cbranch_execz .LBB5_425
; %bb.423:
	s_mov_b32 s10, 0
.LBB5_424:                              ; =>This Inner Loop Header: Depth=1
	v_dual_mov_b32 v2, s6 :: v_dual_mov_b32 v3, s7
	s_sleep 1
	global_store_b64 v[10:11], v[4:5], off
	global_wb scope:SCOPE_SYS
	s_wait_storecnt 0x0
	s_wait_xcnt 0x0
	global_atomic_cmpswap_b64 v[2:3], v12, v[2:5], s[4:5] offset:32 th:TH_ATOMIC_RETURN scope:SCOPE_SYS
	s_wait_loadcnt 0x0
	v_cmp_eq_u64_e32 vcc_lo, v[2:3], v[4:5]
	v_mov_b64_e32 v[4:5], v[2:3]
	s_or_b32 s10, vcc_lo, s10
	s_delay_alu instid0(SALU_CYCLE_1)
	s_and_not1_b32 exec_lo, exec_lo, s10
	s_cbranch_execnz .LBB5_424
.LBB5_425:
	s_or_b32 exec_lo, exec_lo, s9
	v_mov_b32_e32 v5, 0
	s_mov_b32 s10, exec_lo
	s_mov_b32 s9, exec_lo
	v_mbcnt_lo_u32_b32 v4, s10, 0
	global_load_b64 v[2:3], v5, s[4:5] offset:16
	s_wait_xcnt 0x0
	v_cmpx_eq_u32_e32 0, v4
	s_cbranch_execz .LBB5_427
; %bb.426:
	s_bcnt1_i32_b32 s10, s10
	s_delay_alu instid0(SALU_CYCLE_1)
	v_mov_b32_e32 v4, s10
	global_wb scope:SCOPE_SYS
	s_wait_loadcnt 0x0
	s_wait_storecnt 0x0
	global_atomic_add_u64 v[2:3], v[4:5], off offset:8 scope:SCOPE_SYS
.LBB5_427:
	s_wait_xcnt 0x0
	s_or_b32 exec_lo, exec_lo, s9
	s_wait_loadcnt 0x0
	global_load_b64 v[4:5], v[2:3], off offset:16
	s_wait_loadcnt 0x0
	v_cmp_eq_u64_e32 vcc_lo, 0, v[4:5]
	s_cbranch_vccnz .LBB5_429
; %bb.428:
	global_load_b32 v2, v[2:3], off offset:24
	s_wait_xcnt 0x0
	v_mov_b32_e32 v3, 0
	s_wait_loadcnt 0x0
	v_readfirstlane_b32 s9, v2
	global_wb scope:SCOPE_SYS
	s_wait_storecnt 0x0
	global_store_b64 v[4:5], v[2:3], off scope:SCOPE_SYS
	s_and_b32 m0, s9, 0xffffff
	s_sendmsg sendmsg(MSG_INTERRUPT)
.LBB5_429:
	s_wait_xcnt 0x0
	s_or_b32 exec_lo, exec_lo, s8
	v_add_nc_u64_e32 v[2:3], v[6:7], v[0:1]
	s_branch .LBB5_433
.LBB5_430:                              ;   in Loop: Header=BB5_433 Depth=1
	s_wait_xcnt 0x0
	s_or_b32 exec_lo, exec_lo, s8
	s_delay_alu instid0(VALU_DEP_1)
	v_readfirstlane_b32 s8, v1
	s_cmp_eq_u32 s8, 0
	s_cbranch_scc1 .LBB5_432
; %bb.431:                              ;   in Loop: Header=BB5_433 Depth=1
	s_sleep 1
	s_cbranch_execnz .LBB5_433
	s_branch .LBB5_435
.LBB5_432:
	s_branch .LBB5_435
.LBB5_433:                              ; =>This Inner Loop Header: Depth=1
	v_mov_b32_e32 v1, 1
	s_and_saveexec_b32 s8, s3
	s_cbranch_execz .LBB5_430
; %bb.434:                              ;   in Loop: Header=BB5_433 Depth=1
	global_load_b32 v1, v[8:9], off offset:20 scope:SCOPE_SYS
	s_wait_loadcnt 0x0
	global_inv scope:SCOPE_SYS
	v_and_b32_e32 v1, 1, v1
	s_branch .LBB5_430
.LBB5_435:
	global_load_b64 v[2:3], v[2:3], off
	s_wait_xcnt 0x0
	s_and_saveexec_b32 s8, s3
	s_cbranch_execz .LBB5_439
; %bb.436:
	v_mov_b32_e32 v1, 0
	s_clause 0x2
	global_load_b64 v[4:5], v1, s[4:5] offset:40
	global_load_b64 v[12:13], v1, s[4:5] offset:24 scope:SCOPE_SYS
	global_load_b64 v[6:7], v1, s[4:5]
	s_wait_loadcnt 0x2
	v_readfirstlane_b32 s10, v4
	v_readfirstlane_b32 s11, v5
	s_add_nc_u64 s[12:13], s[10:11], 1
	s_delay_alu instid0(SALU_CYCLE_1) | instskip(NEXT) | instid1(SALU_CYCLE_1)
	s_add_nc_u64 s[6:7], s[12:13], s[6:7]
	s_cmp_eq_u64 s[6:7], 0
	s_cselect_b32 s7, s13, s7
	s_cselect_b32 s6, s12, s6
	v_mov_b32_e32 v11, s7
	s_and_b64 s[10:11], s[6:7], s[10:11]
	v_mov_b32_e32 v10, s6
	s_mul_u64 s[10:11], s[10:11], 24
	s_wait_loadcnt 0x0
	v_add_nc_u64_e32 v[8:9], s[10:11], v[6:7]
	global_store_b64 v[8:9], v[12:13], off
	global_wb scope:SCOPE_SYS
	s_wait_storecnt 0x0
	s_wait_xcnt 0x0
	global_atomic_cmpswap_b64 v[6:7], v1, v[10:13], s[4:5] offset:24 th:TH_ATOMIC_RETURN scope:SCOPE_SYS
	s_wait_loadcnt 0x0
	v_cmp_ne_u64_e32 vcc_lo, v[6:7], v[12:13]
	s_and_b32 exec_lo, exec_lo, vcc_lo
	s_cbranch_execz .LBB5_439
; %bb.437:
	s_mov_b32 s3, 0
.LBB5_438:                              ; =>This Inner Loop Header: Depth=1
	v_dual_mov_b32 v4, s6 :: v_dual_mov_b32 v5, s7
	s_sleep 1
	global_store_b64 v[8:9], v[6:7], off
	global_wb scope:SCOPE_SYS
	s_wait_storecnt 0x0
	s_wait_xcnt 0x0
	global_atomic_cmpswap_b64 v[4:5], v1, v[4:7], s[4:5] offset:24 th:TH_ATOMIC_RETURN scope:SCOPE_SYS
	s_wait_loadcnt 0x0
	v_cmp_eq_u64_e32 vcc_lo, v[4:5], v[6:7]
	v_mov_b64_e32 v[6:7], v[4:5]
	s_or_b32 s3, vcc_lo, s3
	s_delay_alu instid0(SALU_CYCLE_1)
	s_and_not1_b32 exec_lo, exec_lo, s3
	s_cbranch_execnz .LBB5_438
.LBB5_439:
	s_or_b32 exec_lo, exec_lo, s8
	s_get_pc_i64 s[6:7]
	s_add_nc_u64 s[6:7], s[6:7], .str.9@rel64+4
	s_mov_b64 s[8:9], 0
	s_cmp_lg_u64 s[6:7], 0
	s_cselect_b32 s3, -1, 0
	s_cmp_eq_u64 s[6:7], 0
	s_cbranch_scc1 .LBB5_443
; %bb.440:
	s_get_pc_i64 s[8:9]
	s_add_nc_u64 s[8:9], s[8:9], .str.9@rel64+3
.LBB5_441:                              ; =>This Inner Loop Header: Depth=1
	s_load_u8 s10, s[8:9], 0x1
	s_wait_xcnt 0x0
	s_add_nc_u64 s[8:9], s[8:9], 1
	s_wait_kmcnt 0x0
	s_cmp_lg_u32 s10, 0
	s_cbranch_scc1 .LBB5_441
; %bb.442:
	s_get_pc_i64 s[10:11]
	s_add_nc_u64 s[10:11], s[10:11], .str.9@rel64+4
	s_delay_alu instid0(SALU_CYCLE_1) | instskip(NEXT) | instid1(SALU_CYCLE_1)
	s_sub_nc_u64 s[8:9], s[8:9], s[10:11]
	s_add_nc_u64 s[8:9], s[8:9], 1
.LBB5_443:
	s_and_b32 vcc_lo, exec_lo, s3
	s_cbranch_vccz .LBB5_522
; %bb.444:
	v_mov_b64_e32 v[10:11], 0x100000002
	s_wait_loadcnt 0x0
	v_dual_mov_b32 v9, 0 :: v_dual_bitop2_b32 v30, 2, v2 bitop3:0x40
	v_dual_mov_b32 v5, v3 :: v_dual_bitop2_b32 v4, -3, v2 bitop3:0x40
	s_branch .LBB5_446
.LBB5_445:                              ;   in Loop: Header=BB5_446 Depth=1
	s_or_b32 exec_lo, exec_lo, s14
	s_sub_nc_u64 s[8:9], s[8:9], s[10:11]
	s_add_nc_u64 s[6:7], s[6:7], s[10:11]
	s_cmp_lg_u64 s[8:9], 0
	s_cbranch_scc0 .LBB5_521
.LBB5_446:                              ; =>This Loop Header: Depth=1
                                        ;     Child Loop BB5_449 Depth 2
                                        ;     Child Loop BB5_456 Depth 2
                                        ;     Child Loop BB5_463 Depth 2
                                        ;     Child Loop BB5_470 Depth 2
                                        ;     Child Loop BB5_477 Depth 2
                                        ;     Child Loop BB5_484 Depth 2
                                        ;     Child Loop BB5_491 Depth 2
                                        ;     Child Loop BB5_498 Depth 2
                                        ;     Child Loop BB5_506 Depth 2
                                        ;     Child Loop BB5_515 Depth 2
                                        ;     Child Loop BB5_520 Depth 2
	v_min_u64 v[6:7], s[8:9], 56
	v_cmp_gt_u64_e64 s3, s[8:9], 7
	s_and_b32 vcc_lo, exec_lo, s3
	v_readfirstlane_b32 s10, v6
	v_readfirstlane_b32 s11, v7
	s_cbranch_vccnz .LBB5_451
; %bb.447:                              ;   in Loop: Header=BB5_446 Depth=1
	v_mov_b64_e32 v[6:7], 0
	s_cmp_eq_u64 s[8:9], 0
	s_cbranch_scc1 .LBB5_450
; %bb.448:                              ;   in Loop: Header=BB5_446 Depth=1
	s_mov_b64 s[12:13], 0
	s_mov_b64 s[14:15], 0
.LBB5_449:                              ;   Parent Loop BB5_446 Depth=1
                                        ; =>  This Inner Loop Header: Depth=2
	s_wait_xcnt 0x0
	s_add_nc_u64 s[16:17], s[6:7], s[14:15]
	s_add_nc_u64 s[14:15], s[14:15], 1
	global_load_u8 v1, v9, s[16:17]
	s_cmp_lg_u32 s10, s14
	s_wait_loadcnt 0x0
	v_and_b32_e32 v8, 0xffff, v1
	s_delay_alu instid0(VALU_DEP_1) | instskip(SKIP_1) | instid1(VALU_DEP_1)
	v_lshlrev_b64_e32 v[12:13], s12, v[8:9]
	s_add_nc_u64 s[12:13], s[12:13], 8
	v_or_b32_e32 v6, v12, v6
	s_delay_alu instid0(VALU_DEP_2)
	v_or_b32_e32 v7, v13, v7
	s_cbranch_scc1 .LBB5_449
.LBB5_450:                              ;   in Loop: Header=BB5_446 Depth=1
	s_mov_b64 s[14:15], s[6:7]
	s_mov_b32 s3, 0
	s_cbranch_execz .LBB5_452
	s_branch .LBB5_453
.LBB5_451:                              ;   in Loop: Header=BB5_446 Depth=1
	s_add_nc_u64 s[14:15], s[6:7], 8
	s_mov_b32 s3, 0
.LBB5_452:                              ;   in Loop: Header=BB5_446 Depth=1
	global_load_b64 v[6:7], v9, s[6:7]
	s_add_co_i32 s3, s10, -8
.LBB5_453:                              ;   in Loop: Header=BB5_446 Depth=1
	s_delay_alu instid0(SALU_CYCLE_1)
	s_cmp_gt_u32 s3, 7
	s_cbranch_scc1 .LBB5_458
; %bb.454:                              ;   in Loop: Header=BB5_446 Depth=1
	v_mov_b64_e32 v[12:13], 0
	s_cmp_eq_u32 s3, 0
	s_cbranch_scc1 .LBB5_457
; %bb.455:                              ;   in Loop: Header=BB5_446 Depth=1
	s_mov_b64 s[12:13], 0
	s_wait_xcnt 0x0
	s_mov_b64 s[16:17], 0
.LBB5_456:                              ;   Parent Loop BB5_446 Depth=1
                                        ; =>  This Inner Loop Header: Depth=2
	s_wait_xcnt 0x0
	s_add_nc_u64 s[18:19], s[14:15], s[16:17]
	s_add_nc_u64 s[16:17], s[16:17], 1
	global_load_u8 v1, v9, s[18:19]
	s_cmp_lg_u32 s3, s16
	s_wait_loadcnt 0x0
	v_and_b32_e32 v8, 0xffff, v1
	s_delay_alu instid0(VALU_DEP_1) | instskip(SKIP_1) | instid1(VALU_DEP_1)
	v_lshlrev_b64_e32 v[14:15], s12, v[8:9]
	s_add_nc_u64 s[12:13], s[12:13], 8
	v_or_b32_e32 v12, v14, v12
	s_delay_alu instid0(VALU_DEP_2)
	v_or_b32_e32 v13, v15, v13
	s_cbranch_scc1 .LBB5_456
.LBB5_457:                              ;   in Loop: Header=BB5_446 Depth=1
	s_wait_xcnt 0x0
	s_mov_b64 s[12:13], s[14:15]
	s_mov_b32 s18, 0
	s_cbranch_execz .LBB5_459
	s_branch .LBB5_460
.LBB5_458:                              ;   in Loop: Header=BB5_446 Depth=1
	s_add_nc_u64 s[12:13], s[14:15], 8
	s_wait_xcnt 0x0
                                        ; implicit-def: $vgpr12_vgpr13
	s_mov_b32 s18, 0
.LBB5_459:                              ;   in Loop: Header=BB5_446 Depth=1
	global_load_b64 v[12:13], v9, s[14:15]
	s_add_co_i32 s18, s3, -8
.LBB5_460:                              ;   in Loop: Header=BB5_446 Depth=1
	s_delay_alu instid0(SALU_CYCLE_1)
	s_cmp_gt_u32 s18, 7
	s_cbranch_scc1 .LBB5_465
; %bb.461:                              ;   in Loop: Header=BB5_446 Depth=1
	v_mov_b64_e32 v[14:15], 0
	s_cmp_eq_u32 s18, 0
	s_cbranch_scc1 .LBB5_464
; %bb.462:                              ;   in Loop: Header=BB5_446 Depth=1
	s_wait_xcnt 0x0
	s_mov_b64 s[14:15], 0
	s_mov_b64 s[16:17], 0
.LBB5_463:                              ;   Parent Loop BB5_446 Depth=1
                                        ; =>  This Inner Loop Header: Depth=2
	s_wait_xcnt 0x0
	s_add_nc_u64 s[20:21], s[12:13], s[16:17]
	s_add_nc_u64 s[16:17], s[16:17], 1
	global_load_u8 v1, v9, s[20:21]
	s_cmp_lg_u32 s18, s16
	s_wait_loadcnt 0x0
	v_and_b32_e32 v8, 0xffff, v1
	s_delay_alu instid0(VALU_DEP_1) | instskip(SKIP_1) | instid1(VALU_DEP_1)
	v_lshlrev_b64_e32 v[16:17], s14, v[8:9]
	s_add_nc_u64 s[14:15], s[14:15], 8
	v_or_b32_e32 v14, v16, v14
	s_delay_alu instid0(VALU_DEP_2)
	v_or_b32_e32 v15, v17, v15
	s_cbranch_scc1 .LBB5_463
.LBB5_464:                              ;   in Loop: Header=BB5_446 Depth=1
	s_wait_xcnt 0x0
	s_mov_b64 s[14:15], s[12:13]
	s_mov_b32 s3, 0
	s_cbranch_execz .LBB5_466
	s_branch .LBB5_467
.LBB5_465:                              ;   in Loop: Header=BB5_446 Depth=1
	s_wait_xcnt 0x0
	s_add_nc_u64 s[14:15], s[12:13], 8
	s_mov_b32 s3, 0
.LBB5_466:                              ;   in Loop: Header=BB5_446 Depth=1
	global_load_b64 v[14:15], v9, s[12:13]
	s_add_co_i32 s3, s18, -8
.LBB5_467:                              ;   in Loop: Header=BB5_446 Depth=1
	s_delay_alu instid0(SALU_CYCLE_1)
	s_cmp_gt_u32 s3, 7
	s_cbranch_scc1 .LBB5_472
; %bb.468:                              ;   in Loop: Header=BB5_446 Depth=1
	v_mov_b64_e32 v[16:17], 0
	s_cmp_eq_u32 s3, 0
	s_cbranch_scc1 .LBB5_471
; %bb.469:                              ;   in Loop: Header=BB5_446 Depth=1
	s_wait_xcnt 0x0
	s_mov_b64 s[12:13], 0
	s_mov_b64 s[16:17], 0
.LBB5_470:                              ;   Parent Loop BB5_446 Depth=1
                                        ; =>  This Inner Loop Header: Depth=2
	s_wait_xcnt 0x0
	s_add_nc_u64 s[18:19], s[14:15], s[16:17]
	s_add_nc_u64 s[16:17], s[16:17], 1
	global_load_u8 v1, v9, s[18:19]
	s_cmp_lg_u32 s3, s16
	s_wait_loadcnt 0x0
	v_and_b32_e32 v8, 0xffff, v1
	s_delay_alu instid0(VALU_DEP_1) | instskip(SKIP_1) | instid1(VALU_DEP_1)
	v_lshlrev_b64_e32 v[18:19], s12, v[8:9]
	s_add_nc_u64 s[12:13], s[12:13], 8
	v_or_b32_e32 v16, v18, v16
	s_delay_alu instid0(VALU_DEP_2)
	v_or_b32_e32 v17, v19, v17
	s_cbranch_scc1 .LBB5_470
.LBB5_471:                              ;   in Loop: Header=BB5_446 Depth=1
	s_wait_xcnt 0x0
	s_mov_b64 s[12:13], s[14:15]
	s_mov_b32 s18, 0
	s_cbranch_execz .LBB5_473
	s_branch .LBB5_474
.LBB5_472:                              ;   in Loop: Header=BB5_446 Depth=1
	s_wait_xcnt 0x0
	s_add_nc_u64 s[12:13], s[14:15], 8
                                        ; implicit-def: $vgpr16_vgpr17
	s_mov_b32 s18, 0
.LBB5_473:                              ;   in Loop: Header=BB5_446 Depth=1
	global_load_b64 v[16:17], v9, s[14:15]
	s_add_co_i32 s18, s3, -8
.LBB5_474:                              ;   in Loop: Header=BB5_446 Depth=1
	s_delay_alu instid0(SALU_CYCLE_1)
	s_cmp_gt_u32 s18, 7
	s_cbranch_scc1 .LBB5_479
; %bb.475:                              ;   in Loop: Header=BB5_446 Depth=1
	v_mov_b64_e32 v[18:19], 0
	s_cmp_eq_u32 s18, 0
	s_cbranch_scc1 .LBB5_478
; %bb.476:                              ;   in Loop: Header=BB5_446 Depth=1
	s_wait_xcnt 0x0
	s_mov_b64 s[14:15], 0
	s_mov_b64 s[16:17], 0
.LBB5_477:                              ;   Parent Loop BB5_446 Depth=1
                                        ; =>  This Inner Loop Header: Depth=2
	s_wait_xcnt 0x0
	s_add_nc_u64 s[20:21], s[12:13], s[16:17]
	s_add_nc_u64 s[16:17], s[16:17], 1
	global_load_u8 v1, v9, s[20:21]
	s_cmp_lg_u32 s18, s16
	s_wait_loadcnt 0x0
	v_and_b32_e32 v8, 0xffff, v1
	s_delay_alu instid0(VALU_DEP_1) | instskip(SKIP_1) | instid1(VALU_DEP_1)
	v_lshlrev_b64_e32 v[20:21], s14, v[8:9]
	s_add_nc_u64 s[14:15], s[14:15], 8
	v_or_b32_e32 v18, v20, v18
	s_delay_alu instid0(VALU_DEP_2)
	v_or_b32_e32 v19, v21, v19
	s_cbranch_scc1 .LBB5_477
.LBB5_478:                              ;   in Loop: Header=BB5_446 Depth=1
	s_wait_xcnt 0x0
	s_mov_b64 s[14:15], s[12:13]
	s_mov_b32 s3, 0
	s_cbranch_execz .LBB5_480
	s_branch .LBB5_481
.LBB5_479:                              ;   in Loop: Header=BB5_446 Depth=1
	s_wait_xcnt 0x0
	s_add_nc_u64 s[14:15], s[12:13], 8
	s_mov_b32 s3, 0
.LBB5_480:                              ;   in Loop: Header=BB5_446 Depth=1
	global_load_b64 v[18:19], v9, s[12:13]
	s_add_co_i32 s3, s18, -8
.LBB5_481:                              ;   in Loop: Header=BB5_446 Depth=1
	s_delay_alu instid0(SALU_CYCLE_1)
	s_cmp_gt_u32 s3, 7
	s_cbranch_scc1 .LBB5_486
; %bb.482:                              ;   in Loop: Header=BB5_446 Depth=1
	v_mov_b64_e32 v[20:21], 0
	s_cmp_eq_u32 s3, 0
	s_cbranch_scc1 .LBB5_485
; %bb.483:                              ;   in Loop: Header=BB5_446 Depth=1
	s_wait_xcnt 0x0
	s_mov_b64 s[12:13], 0
	s_mov_b64 s[16:17], 0
.LBB5_484:                              ;   Parent Loop BB5_446 Depth=1
                                        ; =>  This Inner Loop Header: Depth=2
	s_wait_xcnt 0x0
	s_add_nc_u64 s[18:19], s[14:15], s[16:17]
	s_add_nc_u64 s[16:17], s[16:17], 1
	global_load_u8 v1, v9, s[18:19]
	s_cmp_lg_u32 s3, s16
	s_wait_loadcnt 0x0
	v_and_b32_e32 v8, 0xffff, v1
	s_delay_alu instid0(VALU_DEP_1) | instskip(SKIP_1) | instid1(VALU_DEP_1)
	v_lshlrev_b64_e32 v[22:23], s12, v[8:9]
	s_add_nc_u64 s[12:13], s[12:13], 8
	v_or_b32_e32 v20, v22, v20
	s_delay_alu instid0(VALU_DEP_2)
	v_or_b32_e32 v21, v23, v21
	s_cbranch_scc1 .LBB5_484
.LBB5_485:                              ;   in Loop: Header=BB5_446 Depth=1
	s_wait_xcnt 0x0
	s_mov_b64 s[12:13], s[14:15]
	s_mov_b32 s18, 0
	s_cbranch_execz .LBB5_487
	s_branch .LBB5_488
.LBB5_486:                              ;   in Loop: Header=BB5_446 Depth=1
	s_wait_xcnt 0x0
	s_add_nc_u64 s[12:13], s[14:15], 8
                                        ; implicit-def: $vgpr20_vgpr21
	s_mov_b32 s18, 0
.LBB5_487:                              ;   in Loop: Header=BB5_446 Depth=1
	global_load_b64 v[20:21], v9, s[14:15]
	s_add_co_i32 s18, s3, -8
.LBB5_488:                              ;   in Loop: Header=BB5_446 Depth=1
	s_delay_alu instid0(SALU_CYCLE_1)
	s_cmp_gt_u32 s18, 7
	s_cbranch_scc1 .LBB5_493
; %bb.489:                              ;   in Loop: Header=BB5_446 Depth=1
	v_mov_b64_e32 v[22:23], 0
	s_cmp_eq_u32 s18, 0
	s_cbranch_scc1 .LBB5_492
; %bb.490:                              ;   in Loop: Header=BB5_446 Depth=1
	s_wait_xcnt 0x0
	s_mov_b64 s[14:15], 0
	s_mov_b64 s[16:17], s[12:13]
.LBB5_491:                              ;   Parent Loop BB5_446 Depth=1
                                        ; =>  This Inner Loop Header: Depth=2
	global_load_u8 v1, v9, s[16:17]
	s_add_co_i32 s18, s18, -1
	s_wait_xcnt 0x0
	s_add_nc_u64 s[16:17], s[16:17], 1
	s_cmp_lg_u32 s18, 0
	s_wait_loadcnt 0x0
	v_and_b32_e32 v8, 0xffff, v1
	s_delay_alu instid0(VALU_DEP_1) | instskip(SKIP_1) | instid1(VALU_DEP_1)
	v_lshlrev_b64_e32 v[24:25], s14, v[8:9]
	s_add_nc_u64 s[14:15], s[14:15], 8
	v_or_b32_e32 v22, v24, v22
	s_delay_alu instid0(VALU_DEP_2)
	v_or_b32_e32 v23, v25, v23
	s_cbranch_scc1 .LBB5_491
.LBB5_492:                              ;   in Loop: Header=BB5_446 Depth=1
	s_cbranch_execz .LBB5_494
	s_branch .LBB5_495
.LBB5_493:                              ;   in Loop: Header=BB5_446 Depth=1
.LBB5_494:                              ;   in Loop: Header=BB5_446 Depth=1
	global_load_b64 v[22:23], v9, s[12:13]
.LBB5_495:                              ;   in Loop: Header=BB5_446 Depth=1
	v_readfirstlane_b32 s3, v29
	v_mov_b64_e32 v[32:33], 0
	s_delay_alu instid0(VALU_DEP_2)
	v_cmp_eq_u32_e64 s3, s3, v29
	s_wait_xcnt 0x0
	s_and_saveexec_b32 s12, s3
	s_cbranch_execz .LBB5_501
; %bb.496:                              ;   in Loop: Header=BB5_446 Depth=1
	global_load_b64 v[26:27], v9, s[4:5] offset:24 scope:SCOPE_SYS
	s_wait_loadcnt 0x0
	global_inv scope:SCOPE_SYS
	s_clause 0x1
	global_load_b64 v[24:25], v9, s[4:5] offset:40
	global_load_b64 v[32:33], v9, s[4:5]
	s_mov_b32 s13, exec_lo
	s_wait_loadcnt 0x1
	v_and_b32_e32 v24, v24, v26
	v_and_b32_e32 v25, v25, v27
	s_delay_alu instid0(VALU_DEP_1) | instskip(SKIP_1) | instid1(VALU_DEP_1)
	v_mul_u64_e32 v[24:25], 24, v[24:25]
	s_wait_loadcnt 0x0
	v_add_nc_u64_e32 v[24:25], v[32:33], v[24:25]
	global_load_b64 v[24:25], v[24:25], off scope:SCOPE_SYS
	s_wait_xcnt 0x0
	s_wait_loadcnt 0x0
	global_atomic_cmpswap_b64 v[32:33], v9, v[24:27], s[4:5] offset:24 th:TH_ATOMIC_RETURN scope:SCOPE_SYS
	s_wait_loadcnt 0x0
	global_inv scope:SCOPE_SYS
	s_wait_xcnt 0x0
	v_cmpx_ne_u64_e64 v[32:33], v[26:27]
	s_cbranch_execz .LBB5_500
; %bb.497:                              ;   in Loop: Header=BB5_446 Depth=1
	s_mov_b32 s14, 0
.LBB5_498:                              ;   Parent Loop BB5_446 Depth=1
                                        ; =>  This Inner Loop Header: Depth=2
	s_sleep 1
	s_clause 0x1
	global_load_b64 v[24:25], v9, s[4:5] offset:40
	global_load_b64 v[34:35], v9, s[4:5]
	v_mov_b64_e32 v[26:27], v[32:33]
	s_wait_loadcnt 0x1
	s_delay_alu instid0(VALU_DEP_1) | instskip(SKIP_1) | instid1(VALU_DEP_1)
	v_and_b32_e32 v1, v24, v26
	s_wait_loadcnt 0x0
	v_mad_nc_u64_u32 v[32:33], v1, 24, v[34:35]
	s_delay_alu instid0(VALU_DEP_3) | instskip(NEXT) | instid1(VALU_DEP_1)
	v_and_b32_e32 v1, v25, v27
	v_mad_u32 v33, v1, 24, v33
	global_load_b64 v[24:25], v[32:33], off scope:SCOPE_SYS
	s_wait_xcnt 0x0
	s_wait_loadcnt 0x0
	global_atomic_cmpswap_b64 v[32:33], v9, v[24:27], s[4:5] offset:24 th:TH_ATOMIC_RETURN scope:SCOPE_SYS
	s_wait_loadcnt 0x0
	global_inv scope:SCOPE_SYS
	v_cmp_eq_u64_e32 vcc_lo, v[32:33], v[26:27]
	s_or_b32 s14, vcc_lo, s14
	s_wait_xcnt 0x0
	s_and_not1_b32 exec_lo, exec_lo, s14
	s_cbranch_execnz .LBB5_498
; %bb.499:                              ;   in Loop: Header=BB5_446 Depth=1
	s_or_b32 exec_lo, exec_lo, s14
.LBB5_500:                              ;   in Loop: Header=BB5_446 Depth=1
	s_delay_alu instid0(SALU_CYCLE_1)
	s_or_b32 exec_lo, exec_lo, s13
.LBB5_501:                              ;   in Loop: Header=BB5_446 Depth=1
	s_delay_alu instid0(SALU_CYCLE_1)
	s_or_b32 exec_lo, exec_lo, s12
	s_clause 0x1
	global_load_b64 v[34:35], v9, s[4:5] offset:40
	global_load_b128 v[24:27], v9, s[4:5]
	v_readfirstlane_b32 s12, v32
	v_readfirstlane_b32 s13, v33
	s_mov_b32 s14, exec_lo
	s_wait_loadcnt 0x1
	v_and_b32_e32 v34, s12, v34
	v_and_b32_e32 v35, s13, v35
	s_delay_alu instid0(VALU_DEP_1) | instskip(SKIP_1) | instid1(VALU_DEP_1)
	v_mul_u64_e32 v[32:33], 24, v[34:35]
	s_wait_loadcnt 0x0
	v_add_nc_u64_e32 v[32:33], v[24:25], v[32:33]
	s_wait_xcnt 0x0
	s_and_saveexec_b32 s15, s3
	s_cbranch_execz .LBB5_503
; %bb.502:                              ;   in Loop: Header=BB5_446 Depth=1
	v_mov_b32_e32 v8, s14
	global_store_b128 v[32:33], v[8:11], off offset:8
.LBB5_503:                              ;   in Loop: Header=BB5_446 Depth=1
	s_wait_xcnt 0x0
	s_or_b32 exec_lo, exec_lo, s15
	v_cmp_lt_u64_e64 vcc_lo, s[8:9], 57
	v_lshlrev_b64_e32 v[34:35], 12, v[34:35]
	v_and_b32_e32 v4, 0xffffff1f, v4
	s_lshl_b32 s14, s10, 2
	s_delay_alu instid0(SALU_CYCLE_1) | instskip(SKIP_1) | instid1(VALU_DEP_3)
	s_add_co_i32 s14, s14, 28
	v_cndmask_b32_e32 v1, 0, v30, vcc_lo
	v_add_nc_u64_e32 v[26:27], v[26:27], v[34:35]
	s_delay_alu instid0(VALU_DEP_2) | instskip(NEXT) | instid1(VALU_DEP_2)
	v_or_b32_e32 v1, v4, v1
	v_readfirstlane_b32 s15, v27
	s_delay_alu instid0(VALU_DEP_2) | instskip(NEXT) | instid1(VALU_DEP_4)
	v_and_or_b32 v4, 0x1e0, s14, v1
	v_readfirstlane_b32 s14, v26
	s_clause 0x3
	global_store_b128 v0, v[4:7], s[14:15]
	global_store_b128 v0, v[12:15], s[14:15] offset:16
	global_store_b128 v0, v[16:19], s[14:15] offset:32
	;; [unrolled: 1-line block ×3, first 2 shown]
	s_wait_xcnt 0x0
	s_and_saveexec_b32 s14, s3
	s_cbranch_execz .LBB5_511
; %bb.504:                              ;   in Loop: Header=BB5_446 Depth=1
	s_clause 0x1
	global_load_b64 v[16:17], v9, s[4:5] offset:32 scope:SCOPE_SYS
	global_load_b64 v[4:5], v9, s[4:5] offset:40
	s_mov_b32 s15, exec_lo
	v_dual_mov_b32 v14, s12 :: v_dual_mov_b32 v15, s13
	s_wait_loadcnt 0x0
	v_and_b32_e32 v5, s13, v5
	v_and_b32_e32 v4, s12, v4
	s_delay_alu instid0(VALU_DEP_1) | instskip(NEXT) | instid1(VALU_DEP_1)
	v_mul_u64_e32 v[4:5], 24, v[4:5]
	v_add_nc_u64_e32 v[12:13], v[24:25], v[4:5]
	global_store_b64 v[12:13], v[16:17], off
	global_wb scope:SCOPE_SYS
	s_wait_storecnt 0x0
	s_wait_xcnt 0x0
	global_atomic_cmpswap_b64 v[6:7], v9, v[14:17], s[4:5] offset:32 th:TH_ATOMIC_RETURN scope:SCOPE_SYS
	s_wait_loadcnt 0x0
	v_cmpx_ne_u64_e64 v[6:7], v[16:17]
	s_cbranch_execz .LBB5_507
; %bb.505:                              ;   in Loop: Header=BB5_446 Depth=1
	s_mov_b32 s16, 0
.LBB5_506:                              ;   Parent Loop BB5_446 Depth=1
                                        ; =>  This Inner Loop Header: Depth=2
	v_dual_mov_b32 v4, s12 :: v_dual_mov_b32 v5, s13
	s_sleep 1
	global_store_b64 v[12:13], v[6:7], off
	global_wb scope:SCOPE_SYS
	s_wait_storecnt 0x0
	s_wait_xcnt 0x0
	global_atomic_cmpswap_b64 v[4:5], v9, v[4:7], s[4:5] offset:32 th:TH_ATOMIC_RETURN scope:SCOPE_SYS
	s_wait_loadcnt 0x0
	v_cmp_eq_u64_e32 vcc_lo, v[4:5], v[6:7]
	v_mov_b64_e32 v[6:7], v[4:5]
	s_or_b32 s16, vcc_lo, s16
	s_delay_alu instid0(SALU_CYCLE_1)
	s_and_not1_b32 exec_lo, exec_lo, s16
	s_cbranch_execnz .LBB5_506
.LBB5_507:                              ;   in Loop: Header=BB5_446 Depth=1
	s_or_b32 exec_lo, exec_lo, s15
	global_load_b64 v[4:5], v9, s[4:5] offset:16
	s_mov_b32 s16, exec_lo
	s_mov_b32 s15, exec_lo
	v_mbcnt_lo_u32_b32 v1, s16, 0
	s_wait_xcnt 0x0
	s_delay_alu instid0(VALU_DEP_1)
	v_cmpx_eq_u32_e32 0, v1
	s_cbranch_execz .LBB5_509
; %bb.508:                              ;   in Loop: Header=BB5_446 Depth=1
	s_bcnt1_i32_b32 s16, s16
	s_delay_alu instid0(SALU_CYCLE_1)
	v_mov_b32_e32 v8, s16
	global_wb scope:SCOPE_SYS
	s_wait_loadcnt 0x0
	s_wait_storecnt 0x0
	global_atomic_add_u64 v[4:5], v[8:9], off offset:8 scope:SCOPE_SYS
.LBB5_509:                              ;   in Loop: Header=BB5_446 Depth=1
	s_wait_xcnt 0x0
	s_or_b32 exec_lo, exec_lo, s15
	s_wait_loadcnt 0x0
	global_load_b64 v[6:7], v[4:5], off offset:16
	s_wait_loadcnt 0x0
	v_cmp_eq_u64_e32 vcc_lo, 0, v[6:7]
	s_cbranch_vccnz .LBB5_511
; %bb.510:                              ;   in Loop: Header=BB5_446 Depth=1
	global_load_b32 v8, v[4:5], off offset:24
	s_wait_loadcnt 0x0
	v_readfirstlane_b32 s15, v8
	global_wb scope:SCOPE_SYS
	s_wait_storecnt 0x0
	s_wait_xcnt 0x0
	global_store_b64 v[6:7], v[8:9], off scope:SCOPE_SYS
	s_and_b32 m0, s15, 0xffffff
	s_sendmsg sendmsg(MSG_INTERRUPT)
.LBB5_511:                              ;   in Loop: Header=BB5_446 Depth=1
	s_wait_xcnt 0x0
	s_or_b32 exec_lo, exec_lo, s14
	v_mov_b32_e32 v1, v9
	s_delay_alu instid0(VALU_DEP_1)
	v_add_nc_u64_e32 v[4:5], v[26:27], v[0:1]
	s_branch .LBB5_515
.LBB5_512:                              ;   in Loop: Header=BB5_515 Depth=2
	s_wait_xcnt 0x0
	s_or_b32 exec_lo, exec_lo, s14
	s_delay_alu instid0(VALU_DEP_1)
	v_readfirstlane_b32 s14, v1
	s_cmp_eq_u32 s14, 0
	s_cbranch_scc1 .LBB5_514
; %bb.513:                              ;   in Loop: Header=BB5_515 Depth=2
	s_sleep 1
	s_cbranch_execnz .LBB5_515
	s_branch .LBB5_517
.LBB5_514:                              ;   in Loop: Header=BB5_446 Depth=1
	s_branch .LBB5_517
.LBB5_515:                              ;   Parent Loop BB5_446 Depth=1
                                        ; =>  This Inner Loop Header: Depth=2
	v_mov_b32_e32 v1, 1
	s_and_saveexec_b32 s14, s3
	s_cbranch_execz .LBB5_512
; %bb.516:                              ;   in Loop: Header=BB5_515 Depth=2
	global_load_b32 v1, v[32:33], off offset:20 scope:SCOPE_SYS
	s_wait_loadcnt 0x0
	global_inv scope:SCOPE_SYS
	v_and_b32_e32 v1, 1, v1
	s_branch .LBB5_512
.LBB5_517:                              ;   in Loop: Header=BB5_446 Depth=1
	global_load_b64 v[4:5], v[4:5], off
	s_wait_xcnt 0x0
	s_and_saveexec_b32 s14, s3
	s_cbranch_execz .LBB5_445
; %bb.518:                              ;   in Loop: Header=BB5_446 Depth=1
	s_clause 0x2
	global_load_b64 v[6:7], v9, s[4:5] offset:40
	global_load_b64 v[16:17], v9, s[4:5] offset:24 scope:SCOPE_SYS
	global_load_b64 v[12:13], v9, s[4:5]
	s_wait_loadcnt 0x2
	v_readfirstlane_b32 s16, v6
	v_readfirstlane_b32 s17, v7
	s_add_nc_u64 s[18:19], s[16:17], 1
	s_delay_alu instid0(SALU_CYCLE_1) | instskip(NEXT) | instid1(SALU_CYCLE_1)
	s_add_nc_u64 s[12:13], s[18:19], s[12:13]
	s_cmp_eq_u64 s[12:13], 0
	s_cselect_b32 s13, s19, s13
	s_cselect_b32 s12, s18, s12
	s_delay_alu instid0(SALU_CYCLE_1) | instskip(SKIP_1) | instid1(SALU_CYCLE_1)
	v_dual_mov_b32 v15, s13 :: v_dual_mov_b32 v14, s12
	s_and_b64 s[16:17], s[12:13], s[16:17]
	s_mul_u64 s[16:17], s[16:17], 24
	s_wait_loadcnt 0x0
	v_add_nc_u64_e32 v[6:7], s[16:17], v[12:13]
	global_store_b64 v[6:7], v[16:17], off
	global_wb scope:SCOPE_SYS
	s_wait_storecnt 0x0
	s_wait_xcnt 0x0
	global_atomic_cmpswap_b64 v[14:15], v9, v[14:17], s[4:5] offset:24 th:TH_ATOMIC_RETURN scope:SCOPE_SYS
	s_wait_loadcnt 0x0
	v_cmp_ne_u64_e32 vcc_lo, v[14:15], v[16:17]
	s_and_b32 exec_lo, exec_lo, vcc_lo
	s_cbranch_execz .LBB5_445
; %bb.519:                              ;   in Loop: Header=BB5_446 Depth=1
	s_mov_b32 s3, 0
.LBB5_520:                              ;   Parent Loop BB5_446 Depth=1
                                        ; =>  This Inner Loop Header: Depth=2
	v_dual_mov_b32 v12, s12 :: v_dual_mov_b32 v13, s13
	s_sleep 1
	global_store_b64 v[6:7], v[14:15], off
	global_wb scope:SCOPE_SYS
	s_wait_storecnt 0x0
	s_wait_xcnt 0x0
	global_atomic_cmpswap_b64 v[12:13], v9, v[12:15], s[4:5] offset:24 th:TH_ATOMIC_RETURN scope:SCOPE_SYS
	s_wait_loadcnt 0x0
	v_cmp_eq_u64_e32 vcc_lo, v[12:13], v[14:15]
	v_mov_b64_e32 v[14:15], v[12:13]
	s_or_b32 s3, vcc_lo, s3
	s_delay_alu instid0(SALU_CYCLE_1)
	s_and_not1_b32 exec_lo, exec_lo, s3
	s_cbranch_execnz .LBB5_520
	s_branch .LBB5_445
.LBB5_521:
	s_branch .LBB5_550
.LBB5_522:
                                        ; implicit-def: $vgpr4_vgpr5
	s_cbranch_execz .LBB5_550
; %bb.523:
	v_readfirstlane_b32 s3, v29
	s_wait_loadcnt 0x0
	v_mov_b64_e32 v[4:5], 0
	s_delay_alu instid0(VALU_DEP_2)
	v_cmp_eq_u32_e64 s3, s3, v29
	s_and_saveexec_b32 s6, s3
	s_cbranch_execz .LBB5_529
; %bb.524:
	v_mov_b32_e32 v1, 0
	s_mov_b32 s7, exec_lo
	global_load_b64 v[6:7], v1, s[4:5] offset:24 scope:SCOPE_SYS
	s_wait_loadcnt 0x0
	global_inv scope:SCOPE_SYS
	s_clause 0x1
	global_load_b64 v[4:5], v1, s[4:5] offset:40
	global_load_b64 v[8:9], v1, s[4:5]
	s_wait_loadcnt 0x1
	v_and_b32_e32 v4, v4, v6
	v_and_b32_e32 v5, v5, v7
	s_delay_alu instid0(VALU_DEP_1) | instskip(SKIP_1) | instid1(VALU_DEP_1)
	v_mul_u64_e32 v[4:5], 24, v[4:5]
	s_wait_loadcnt 0x0
	v_add_nc_u64_e32 v[4:5], v[8:9], v[4:5]
	global_load_b64 v[4:5], v[4:5], off scope:SCOPE_SYS
	s_wait_xcnt 0x0
	s_wait_loadcnt 0x0
	global_atomic_cmpswap_b64 v[4:5], v1, v[4:7], s[4:5] offset:24 th:TH_ATOMIC_RETURN scope:SCOPE_SYS
	s_wait_loadcnt 0x0
	global_inv scope:SCOPE_SYS
	s_wait_xcnt 0x0
	v_cmpx_ne_u64_e64 v[4:5], v[6:7]
	s_cbranch_execz .LBB5_528
; %bb.525:
	s_mov_b32 s8, 0
.LBB5_526:                              ; =>This Inner Loop Header: Depth=1
	s_sleep 1
	s_clause 0x1
	global_load_b64 v[8:9], v1, s[4:5] offset:40
	global_load_b64 v[10:11], v1, s[4:5]
	v_mov_b64_e32 v[6:7], v[4:5]
	s_wait_loadcnt 0x1
	s_delay_alu instid0(VALU_DEP_1) | instskip(NEXT) | instid1(VALU_DEP_2)
	v_and_b32_e32 v4, v8, v6
	v_and_b32_e32 v8, v9, v7
	s_wait_loadcnt 0x0
	s_delay_alu instid0(VALU_DEP_2) | instskip(NEXT) | instid1(VALU_DEP_1)
	v_mad_nc_u64_u32 v[4:5], v4, 24, v[10:11]
	v_mad_u32 v5, v8, 24, v5
	global_load_b64 v[4:5], v[4:5], off scope:SCOPE_SYS
	s_wait_xcnt 0x0
	s_wait_loadcnt 0x0
	global_atomic_cmpswap_b64 v[4:5], v1, v[4:7], s[4:5] offset:24 th:TH_ATOMIC_RETURN scope:SCOPE_SYS
	s_wait_loadcnt 0x0
	global_inv scope:SCOPE_SYS
	v_cmp_eq_u64_e32 vcc_lo, v[4:5], v[6:7]
	s_or_b32 s8, vcc_lo, s8
	s_wait_xcnt 0x0
	s_and_not1_b32 exec_lo, exec_lo, s8
	s_cbranch_execnz .LBB5_526
; %bb.527:
	s_or_b32 exec_lo, exec_lo, s8
.LBB5_528:
	s_delay_alu instid0(SALU_CYCLE_1)
	s_or_b32 exec_lo, exec_lo, s7
.LBB5_529:
	s_delay_alu instid0(SALU_CYCLE_1)
	s_or_b32 exec_lo, exec_lo, s6
	v_readfirstlane_b32 s6, v4
	v_mov_b32_e32 v1, 0
	v_readfirstlane_b32 s7, v5
	s_mov_b32 s8, exec_lo
	s_clause 0x1
	global_load_b64 v[10:11], v1, s[4:5] offset:40
	global_load_b128 v[6:9], v1, s[4:5]
	s_wait_loadcnt 0x1
	v_and_b32_e32 v4, s6, v10
	v_and_b32_e32 v5, s7, v11
	s_delay_alu instid0(VALU_DEP_1) | instskip(SKIP_1) | instid1(VALU_DEP_1)
	v_mul_u64_e32 v[10:11], 24, v[4:5]
	s_wait_loadcnt 0x0
	v_add_nc_u64_e32 v[10:11], v[6:7], v[10:11]
	s_wait_xcnt 0x0
	s_and_saveexec_b32 s9, s3
	s_cbranch_execz .LBB5_531
; %bb.530:
	v_mov_b64_e32 v[14:15], 0x100000002
	v_dual_mov_b32 v12, s8 :: v_dual_mov_b32 v13, v1
	global_store_b128 v[10:11], v[12:15], off offset:8
.LBB5_531:
	s_wait_xcnt 0x0
	s_or_b32 exec_lo, exec_lo, s9
	v_lshlrev_b64_e32 v[4:5], 12, v[4:5]
	s_mov_b32 s8, 0
	v_and_or_b32 v2, 0xffffff1f, v2, 32
	s_mov_b32 s10, s8
	s_mov_b32 s11, s8
	;; [unrolled: 1-line block ×3, first 2 shown]
	v_mov_b64_e32 v[14:15], s[10:11]
	v_add_nc_u64_e32 v[8:9], v[8:9], v[4:5]
	v_mov_b64_e32 v[12:13], s[8:9]
	v_dual_mov_b32 v4, v1 :: v_dual_mov_b32 v5, v1
	s_delay_alu instid0(VALU_DEP_3) | instskip(NEXT) | instid1(VALU_DEP_4)
	v_readfirstlane_b32 s12, v8
	v_readfirstlane_b32 s13, v9
	s_clause 0x3
	global_store_b128 v0, v[2:5], s[12:13]
	global_store_b128 v0, v[12:15], s[12:13] offset:16
	global_store_b128 v0, v[12:15], s[12:13] offset:32
	;; [unrolled: 1-line block ×3, first 2 shown]
	s_wait_xcnt 0x0
	s_and_saveexec_b32 s8, s3
	s_cbranch_execz .LBB5_539
; %bb.532:
	v_dual_mov_b32 v12, 0 :: v_dual_mov_b32 v15, s7
	s_mov_b32 s9, exec_lo
	s_clause 0x1
	global_load_b64 v[16:17], v12, s[4:5] offset:32 scope:SCOPE_SYS
	global_load_b64 v[2:3], v12, s[4:5] offset:40
	s_wait_loadcnt 0x0
	v_dual_mov_b32 v14, s6 :: v_dual_bitop2_b32 v3, s7, v3 bitop3:0x40
	v_and_b32_e32 v2, s6, v2
	s_delay_alu instid0(VALU_DEP_1) | instskip(NEXT) | instid1(VALU_DEP_1)
	v_mul_u64_e32 v[2:3], 24, v[2:3]
	v_add_nc_u64_e32 v[6:7], v[6:7], v[2:3]
	global_store_b64 v[6:7], v[16:17], off
	global_wb scope:SCOPE_SYS
	s_wait_storecnt 0x0
	s_wait_xcnt 0x0
	global_atomic_cmpswap_b64 v[4:5], v12, v[14:17], s[4:5] offset:32 th:TH_ATOMIC_RETURN scope:SCOPE_SYS
	s_wait_loadcnt 0x0
	v_cmpx_ne_u64_e64 v[4:5], v[16:17]
	s_cbranch_execz .LBB5_535
; %bb.533:
	s_mov_b32 s10, 0
.LBB5_534:                              ; =>This Inner Loop Header: Depth=1
	v_dual_mov_b32 v2, s6 :: v_dual_mov_b32 v3, s7
	s_sleep 1
	global_store_b64 v[6:7], v[4:5], off
	global_wb scope:SCOPE_SYS
	s_wait_storecnt 0x0
	s_wait_xcnt 0x0
	global_atomic_cmpswap_b64 v[2:3], v12, v[2:5], s[4:5] offset:32 th:TH_ATOMIC_RETURN scope:SCOPE_SYS
	s_wait_loadcnt 0x0
	v_cmp_eq_u64_e32 vcc_lo, v[2:3], v[4:5]
	v_mov_b64_e32 v[4:5], v[2:3]
	s_or_b32 s10, vcc_lo, s10
	s_delay_alu instid0(SALU_CYCLE_1)
	s_and_not1_b32 exec_lo, exec_lo, s10
	s_cbranch_execnz .LBB5_534
.LBB5_535:
	s_or_b32 exec_lo, exec_lo, s9
	v_mov_b32_e32 v5, 0
	s_mov_b32 s10, exec_lo
	s_mov_b32 s9, exec_lo
	v_mbcnt_lo_u32_b32 v4, s10, 0
	global_load_b64 v[2:3], v5, s[4:5] offset:16
	s_wait_xcnt 0x0
	v_cmpx_eq_u32_e32 0, v4
	s_cbranch_execz .LBB5_537
; %bb.536:
	s_bcnt1_i32_b32 s10, s10
	s_delay_alu instid0(SALU_CYCLE_1)
	v_mov_b32_e32 v4, s10
	global_wb scope:SCOPE_SYS
	s_wait_loadcnt 0x0
	s_wait_storecnt 0x0
	global_atomic_add_u64 v[2:3], v[4:5], off offset:8 scope:SCOPE_SYS
.LBB5_537:
	s_wait_xcnt 0x0
	s_or_b32 exec_lo, exec_lo, s9
	s_wait_loadcnt 0x0
	global_load_b64 v[4:5], v[2:3], off offset:16
	s_wait_loadcnt 0x0
	v_cmp_eq_u64_e32 vcc_lo, 0, v[4:5]
	s_cbranch_vccnz .LBB5_539
; %bb.538:
	global_load_b32 v2, v[2:3], off offset:24
	s_wait_xcnt 0x0
	v_mov_b32_e32 v3, 0
	s_wait_loadcnt 0x0
	v_readfirstlane_b32 s9, v2
	global_wb scope:SCOPE_SYS
	s_wait_storecnt 0x0
	global_store_b64 v[4:5], v[2:3], off scope:SCOPE_SYS
	s_and_b32 m0, s9, 0xffffff
	s_sendmsg sendmsg(MSG_INTERRUPT)
.LBB5_539:
	s_wait_xcnt 0x0
	s_or_b32 exec_lo, exec_lo, s8
	v_add_nc_u64_e32 v[2:3], v[8:9], v[0:1]
	s_branch .LBB5_543
.LBB5_540:                              ;   in Loop: Header=BB5_543 Depth=1
	s_wait_xcnt 0x0
	s_or_b32 exec_lo, exec_lo, s8
	s_delay_alu instid0(VALU_DEP_1)
	v_readfirstlane_b32 s8, v1
	s_cmp_eq_u32 s8, 0
	s_cbranch_scc1 .LBB5_542
; %bb.541:                              ;   in Loop: Header=BB5_543 Depth=1
	s_sleep 1
	s_cbranch_execnz .LBB5_543
	s_branch .LBB5_545
.LBB5_542:
	s_branch .LBB5_545
.LBB5_543:                              ; =>This Inner Loop Header: Depth=1
	v_mov_b32_e32 v1, 1
	s_and_saveexec_b32 s8, s3
	s_cbranch_execz .LBB5_540
; %bb.544:                              ;   in Loop: Header=BB5_543 Depth=1
	global_load_b32 v1, v[10:11], off offset:20 scope:SCOPE_SYS
	s_wait_loadcnt 0x0
	global_inv scope:SCOPE_SYS
	v_and_b32_e32 v1, 1, v1
	s_branch .LBB5_540
.LBB5_545:
	global_load_b64 v[4:5], v[2:3], off
	s_wait_xcnt 0x0
	s_and_saveexec_b32 s8, s3
	s_cbranch_execz .LBB5_549
; %bb.546:
	v_mov_b32_e32 v1, 0
	s_clause 0x2
	global_load_b64 v[2:3], v1, s[4:5] offset:40
	global_load_b64 v[10:11], v1, s[4:5] offset:24 scope:SCOPE_SYS
	global_load_b64 v[6:7], v1, s[4:5]
	s_wait_loadcnt 0x2
	v_readfirstlane_b32 s10, v2
	v_readfirstlane_b32 s11, v3
	s_add_nc_u64 s[12:13], s[10:11], 1
	s_delay_alu instid0(SALU_CYCLE_1) | instskip(NEXT) | instid1(SALU_CYCLE_1)
	s_add_nc_u64 s[6:7], s[12:13], s[6:7]
	s_cmp_eq_u64 s[6:7], 0
	s_cselect_b32 s7, s13, s7
	s_cselect_b32 s6, s12, s6
	v_mov_b32_e32 v9, s7
	s_and_b64 s[10:11], s[6:7], s[10:11]
	v_mov_b32_e32 v8, s6
	s_mul_u64 s[10:11], s[10:11], 24
	s_wait_loadcnt 0x0
	v_add_nc_u64_e32 v[2:3], s[10:11], v[6:7]
	global_store_b64 v[2:3], v[10:11], off
	global_wb scope:SCOPE_SYS
	s_wait_storecnt 0x0
	s_wait_xcnt 0x0
	global_atomic_cmpswap_b64 v[8:9], v1, v[8:11], s[4:5] offset:24 th:TH_ATOMIC_RETURN scope:SCOPE_SYS
	s_wait_loadcnt 0x0
	v_cmp_ne_u64_e32 vcc_lo, v[8:9], v[10:11]
	s_and_b32 exec_lo, exec_lo, vcc_lo
	s_cbranch_execz .LBB5_549
; %bb.547:
	s_mov_b32 s3, 0
.LBB5_548:                              ; =>This Inner Loop Header: Depth=1
	v_dual_mov_b32 v6, s6 :: v_dual_mov_b32 v7, s7
	s_sleep 1
	global_store_b64 v[2:3], v[8:9], off
	global_wb scope:SCOPE_SYS
	s_wait_storecnt 0x0
	s_wait_xcnt 0x0
	global_atomic_cmpswap_b64 v[6:7], v1, v[6:9], s[4:5] offset:24 th:TH_ATOMIC_RETURN scope:SCOPE_SYS
	s_wait_loadcnt 0x0
	v_cmp_eq_u64_e32 vcc_lo, v[6:7], v[8:9]
	v_mov_b64_e32 v[8:9], v[6:7]
	s_or_b32 s3, vcc_lo, s3
	s_delay_alu instid0(SALU_CYCLE_1)
	s_and_not1_b32 exec_lo, exec_lo, s3
	s_cbranch_execnz .LBB5_548
.LBB5_549:
	s_or_b32 exec_lo, exec_lo, s8
.LBB5_550:
	v_readfirstlane_b32 s3, v29
	s_wait_loadcnt 0x0
	v_mov_b64_e32 v[2:3], 0
	s_delay_alu instid0(VALU_DEP_2)
	v_cmp_eq_u32_e64 s3, s3, v29
	s_and_saveexec_b32 s6, s3
	s_cbranch_execz .LBB5_556
; %bb.551:
	v_mov_b32_e32 v1, 0
	s_mov_b32 s7, exec_lo
	global_load_b64 v[8:9], v1, s[4:5] offset:24 scope:SCOPE_SYS
	s_wait_loadcnt 0x0
	global_inv scope:SCOPE_SYS
	s_clause 0x1
	global_load_b64 v[2:3], v1, s[4:5] offset:40
	global_load_b64 v[6:7], v1, s[4:5]
	s_wait_loadcnt 0x1
	v_and_b32_e32 v2, v2, v8
	v_and_b32_e32 v3, v3, v9
	s_delay_alu instid0(VALU_DEP_1) | instskip(SKIP_1) | instid1(VALU_DEP_1)
	v_mul_u64_e32 v[2:3], 24, v[2:3]
	s_wait_loadcnt 0x0
	v_add_nc_u64_e32 v[2:3], v[6:7], v[2:3]
	global_load_b64 v[6:7], v[2:3], off scope:SCOPE_SYS
	s_wait_xcnt 0x0
	s_wait_loadcnt 0x0
	global_atomic_cmpswap_b64 v[2:3], v1, v[6:9], s[4:5] offset:24 th:TH_ATOMIC_RETURN scope:SCOPE_SYS
	s_wait_loadcnt 0x0
	global_inv scope:SCOPE_SYS
	s_wait_xcnt 0x0
	v_cmpx_ne_u64_e64 v[2:3], v[8:9]
	s_cbranch_execz .LBB5_555
; %bb.552:
	s_mov_b32 s8, 0
.LBB5_553:                              ; =>This Inner Loop Header: Depth=1
	s_sleep 1
	s_clause 0x1
	global_load_b64 v[6:7], v1, s[4:5] offset:40
	global_load_b64 v[10:11], v1, s[4:5]
	v_mov_b64_e32 v[8:9], v[2:3]
	s_wait_loadcnt 0x1
	s_delay_alu instid0(VALU_DEP_1) | instskip(NEXT) | instid1(VALU_DEP_2)
	v_and_b32_e32 v2, v6, v8
	v_and_b32_e32 v6, v7, v9
	s_wait_loadcnt 0x0
	s_delay_alu instid0(VALU_DEP_2) | instskip(NEXT) | instid1(VALU_DEP_1)
	v_mad_nc_u64_u32 v[2:3], v2, 24, v[10:11]
	v_mad_u32 v3, v6, 24, v3
	global_load_b64 v[6:7], v[2:3], off scope:SCOPE_SYS
	s_wait_xcnt 0x0
	s_wait_loadcnt 0x0
	global_atomic_cmpswap_b64 v[2:3], v1, v[6:9], s[4:5] offset:24 th:TH_ATOMIC_RETURN scope:SCOPE_SYS
	s_wait_loadcnt 0x0
	global_inv scope:SCOPE_SYS
	v_cmp_eq_u64_e32 vcc_lo, v[2:3], v[8:9]
	s_or_b32 s8, vcc_lo, s8
	s_wait_xcnt 0x0
	s_and_not1_b32 exec_lo, exec_lo, s8
	s_cbranch_execnz .LBB5_553
; %bb.554:
	s_or_b32 exec_lo, exec_lo, s8
.LBB5_555:
	s_delay_alu instid0(SALU_CYCLE_1)
	s_or_b32 exec_lo, exec_lo, s7
.LBB5_556:
	s_delay_alu instid0(SALU_CYCLE_1)
	s_or_b32 exec_lo, exec_lo, s6
	v_readfirstlane_b32 s6, v2
	v_mov_b32_e32 v1, 0
	v_readfirstlane_b32 s7, v3
	s_mov_b32 s8, exec_lo
	s_clause 0x1
	global_load_b64 v[6:7], v1, s[4:5] offset:40
	global_load_b128 v[8:11], v1, s[4:5]
	s_wait_loadcnt 0x1
	v_and_b32_e32 v2, s6, v6
	v_and_b32_e32 v3, s7, v7
	s_delay_alu instid0(VALU_DEP_1) | instskip(SKIP_1) | instid1(VALU_DEP_1)
	v_mul_u64_e32 v[6:7], 24, v[2:3]
	s_wait_loadcnt 0x0
	v_add_nc_u64_e32 v[12:13], v[8:9], v[6:7]
	s_wait_xcnt 0x0
	s_and_saveexec_b32 s9, s3
	s_cbranch_execz .LBB5_558
; %bb.557:
	v_mov_b64_e32 v[16:17], 0x100000002
	v_dual_mov_b32 v14, s8 :: v_dual_mov_b32 v15, v1
	global_store_b128 v[12:13], v[14:17], off offset:8
.LBB5_558:
	s_wait_xcnt 0x0
	s_or_b32 exec_lo, exec_lo, s9
	v_lshlrev_b64_e32 v[2:3], 12, v[2:3]
	s_mov_b32 s8, 0
	v_and_or_b32 v4, 0xffffff1f, v4, 32
	s_mov_b32 s10, s8
	s_mov_b32 s11, s8
	;; [unrolled: 1-line block ×3, first 2 shown]
	v_mov_b64_e32 v[16:17], s[10:11]
	v_add_nc_u64_e32 v[10:11], v[10:11], v[2:3]
	v_mov_b64_e32 v[14:15], s[8:9]
	v_dual_mov_b32 v6, 15 :: v_dual_mov_b32 v7, v1
	s_delay_alu instid0(VALU_DEP_3) | instskip(NEXT) | instid1(VALU_DEP_4)
	v_readfirstlane_b32 s12, v10
	v_readfirstlane_b32 s13, v11
	s_clause 0x3
	global_store_b128 v0, v[4:7], s[12:13]
	global_store_b128 v0, v[14:17], s[12:13] offset:16
	global_store_b128 v0, v[14:17], s[12:13] offset:32
	;; [unrolled: 1-line block ×3, first 2 shown]
	s_wait_xcnt 0x0
	s_and_saveexec_b32 s8, s3
	s_cbranch_execz .LBB5_566
; %bb.559:
	v_dual_mov_b32 v14, 0 :: v_dual_mov_b32 v17, s7
	s_mov_b32 s9, exec_lo
	s_clause 0x1
	global_load_b64 v[18:19], v14, s[4:5] offset:32 scope:SCOPE_SYS
	global_load_b64 v[2:3], v14, s[4:5] offset:40
	s_wait_loadcnt 0x0
	v_dual_mov_b32 v16, s6 :: v_dual_bitop2_b32 v3, s7, v3 bitop3:0x40
	v_and_b32_e32 v2, s6, v2
	s_delay_alu instid0(VALU_DEP_1) | instskip(NEXT) | instid1(VALU_DEP_1)
	v_mul_u64_e32 v[2:3], 24, v[2:3]
	v_add_nc_u64_e32 v[6:7], v[8:9], v[2:3]
	global_store_b64 v[6:7], v[18:19], off
	global_wb scope:SCOPE_SYS
	s_wait_storecnt 0x0
	s_wait_xcnt 0x0
	global_atomic_cmpswap_b64 v[4:5], v14, v[16:19], s[4:5] offset:32 th:TH_ATOMIC_RETURN scope:SCOPE_SYS
	s_wait_loadcnt 0x0
	v_cmpx_ne_u64_e64 v[4:5], v[18:19]
	s_cbranch_execz .LBB5_562
; %bb.560:
	s_mov_b32 s10, 0
.LBB5_561:                              ; =>This Inner Loop Header: Depth=1
	v_dual_mov_b32 v2, s6 :: v_dual_mov_b32 v3, s7
	s_sleep 1
	global_store_b64 v[6:7], v[4:5], off
	global_wb scope:SCOPE_SYS
	s_wait_storecnt 0x0
	s_wait_xcnt 0x0
	global_atomic_cmpswap_b64 v[2:3], v14, v[2:5], s[4:5] offset:32 th:TH_ATOMIC_RETURN scope:SCOPE_SYS
	s_wait_loadcnt 0x0
	v_cmp_eq_u64_e32 vcc_lo, v[2:3], v[4:5]
	v_mov_b64_e32 v[4:5], v[2:3]
	s_or_b32 s10, vcc_lo, s10
	s_delay_alu instid0(SALU_CYCLE_1)
	s_and_not1_b32 exec_lo, exec_lo, s10
	s_cbranch_execnz .LBB5_561
.LBB5_562:
	s_or_b32 exec_lo, exec_lo, s9
	v_mov_b32_e32 v5, 0
	s_mov_b32 s10, exec_lo
	s_mov_b32 s9, exec_lo
	v_mbcnt_lo_u32_b32 v4, s10, 0
	global_load_b64 v[2:3], v5, s[4:5] offset:16
	s_wait_xcnt 0x0
	v_cmpx_eq_u32_e32 0, v4
	s_cbranch_execz .LBB5_564
; %bb.563:
	s_bcnt1_i32_b32 s10, s10
	s_delay_alu instid0(SALU_CYCLE_1)
	v_mov_b32_e32 v4, s10
	global_wb scope:SCOPE_SYS
	s_wait_loadcnt 0x0
	s_wait_storecnt 0x0
	global_atomic_add_u64 v[2:3], v[4:5], off offset:8 scope:SCOPE_SYS
.LBB5_564:
	s_wait_xcnt 0x0
	s_or_b32 exec_lo, exec_lo, s9
	s_wait_loadcnt 0x0
	global_load_b64 v[4:5], v[2:3], off offset:16
	s_wait_loadcnt 0x0
	v_cmp_eq_u64_e32 vcc_lo, 0, v[4:5]
	s_cbranch_vccnz .LBB5_566
; %bb.565:
	global_load_b32 v2, v[2:3], off offset:24
	s_wait_xcnt 0x0
	v_mov_b32_e32 v3, 0
	s_wait_loadcnt 0x0
	v_readfirstlane_b32 s9, v2
	global_wb scope:SCOPE_SYS
	s_wait_storecnt 0x0
	global_store_b64 v[4:5], v[2:3], off scope:SCOPE_SYS
	s_and_b32 m0, s9, 0xffffff
	s_sendmsg sendmsg(MSG_INTERRUPT)
.LBB5_566:
	s_wait_xcnt 0x0
	s_or_b32 exec_lo, exec_lo, s8
	v_add_nc_u64_e32 v[2:3], v[10:11], v[0:1]
	s_branch .LBB5_570
.LBB5_567:                              ;   in Loop: Header=BB5_570 Depth=1
	s_wait_xcnt 0x0
	s_or_b32 exec_lo, exec_lo, s8
	s_delay_alu instid0(VALU_DEP_1)
	v_readfirstlane_b32 s8, v1
	s_cmp_eq_u32 s8, 0
	s_cbranch_scc1 .LBB5_569
; %bb.568:                              ;   in Loop: Header=BB5_570 Depth=1
	s_sleep 1
	s_cbranch_execnz .LBB5_570
	s_branch .LBB5_572
.LBB5_569:
	s_branch .LBB5_572
.LBB5_570:                              ; =>This Inner Loop Header: Depth=1
	v_mov_b32_e32 v1, 1
	s_and_saveexec_b32 s8, s3
	s_cbranch_execz .LBB5_567
; %bb.571:                              ;   in Loop: Header=BB5_570 Depth=1
	global_load_b32 v1, v[12:13], off offset:20 scope:SCOPE_SYS
	s_wait_loadcnt 0x0
	global_inv scope:SCOPE_SYS
	v_and_b32_e32 v1, 1, v1
	s_branch .LBB5_567
.LBB5_572:
	global_load_b64 v[2:3], v[2:3], off
	s_wait_xcnt 0x0
	s_and_saveexec_b32 s8, s3
	s_cbranch_execz .LBB5_576
; %bb.573:
	v_mov_b32_e32 v1, 0
	s_clause 0x2
	global_load_b64 v[4:5], v1, s[4:5] offset:40
	global_load_b64 v[12:13], v1, s[4:5] offset:24 scope:SCOPE_SYS
	global_load_b64 v[6:7], v1, s[4:5]
	s_wait_loadcnt 0x2
	v_readfirstlane_b32 s10, v4
	v_readfirstlane_b32 s11, v5
	s_add_nc_u64 s[12:13], s[10:11], 1
	s_delay_alu instid0(SALU_CYCLE_1) | instskip(NEXT) | instid1(SALU_CYCLE_1)
	s_add_nc_u64 s[6:7], s[12:13], s[6:7]
	s_cmp_eq_u64 s[6:7], 0
	s_cselect_b32 s7, s13, s7
	s_cselect_b32 s6, s12, s6
	v_mov_b32_e32 v11, s7
	s_and_b64 s[10:11], s[6:7], s[10:11]
	v_mov_b32_e32 v10, s6
	s_mul_u64 s[10:11], s[10:11], 24
	s_wait_loadcnt 0x0
	v_add_nc_u64_e32 v[8:9], s[10:11], v[6:7]
	global_store_b64 v[8:9], v[12:13], off
	global_wb scope:SCOPE_SYS
	s_wait_storecnt 0x0
	s_wait_xcnt 0x0
	global_atomic_cmpswap_b64 v[6:7], v1, v[10:13], s[4:5] offset:24 th:TH_ATOMIC_RETURN scope:SCOPE_SYS
	s_wait_loadcnt 0x0
	v_cmp_ne_u64_e32 vcc_lo, v[6:7], v[12:13]
	s_and_b32 exec_lo, exec_lo, vcc_lo
	s_cbranch_execz .LBB5_576
; %bb.574:
	s_mov_b32 s3, 0
.LBB5_575:                              ; =>This Inner Loop Header: Depth=1
	v_dual_mov_b32 v4, s6 :: v_dual_mov_b32 v5, s7
	s_sleep 1
	global_store_b64 v[8:9], v[6:7], off
	global_wb scope:SCOPE_SYS
	s_wait_storecnt 0x0
	s_wait_xcnt 0x0
	global_atomic_cmpswap_b64 v[4:5], v1, v[4:7], s[4:5] offset:24 th:TH_ATOMIC_RETURN scope:SCOPE_SYS
	s_wait_loadcnt 0x0
	v_cmp_eq_u64_e32 vcc_lo, v[4:5], v[6:7]
	v_mov_b64_e32 v[6:7], v[4:5]
	s_or_b32 s3, vcc_lo, s3
	s_delay_alu instid0(SALU_CYCLE_1)
	s_and_not1_b32 exec_lo, exec_lo, s3
	s_cbranch_execnz .LBB5_575
.LBB5_576:
	s_or_b32 exec_lo, exec_lo, s8
	v_readfirstlane_b32 s3, v29
	v_mov_b64_e32 v[4:5], 0
	s_delay_alu instid0(VALU_DEP_2)
	v_cmp_eq_u32_e64 s3, s3, v29
	s_and_saveexec_b32 s6, s3
	s_cbranch_execz .LBB5_582
; %bb.577:
	v_mov_b32_e32 v1, 0
	s_mov_b32 s7, exec_lo
	global_load_b64 v[6:7], v1, s[4:5] offset:24 scope:SCOPE_SYS
	s_wait_loadcnt 0x0
	global_inv scope:SCOPE_SYS
	s_clause 0x1
	global_load_b64 v[4:5], v1, s[4:5] offset:40
	global_load_b64 v[8:9], v1, s[4:5]
	s_wait_loadcnt 0x1
	v_and_b32_e32 v4, v4, v6
	v_and_b32_e32 v5, v5, v7
	s_delay_alu instid0(VALU_DEP_1) | instskip(SKIP_1) | instid1(VALU_DEP_1)
	v_mul_u64_e32 v[4:5], 24, v[4:5]
	s_wait_loadcnt 0x0
	v_add_nc_u64_e32 v[4:5], v[8:9], v[4:5]
	global_load_b64 v[4:5], v[4:5], off scope:SCOPE_SYS
	s_wait_xcnt 0x0
	s_wait_loadcnt 0x0
	global_atomic_cmpswap_b64 v[4:5], v1, v[4:7], s[4:5] offset:24 th:TH_ATOMIC_RETURN scope:SCOPE_SYS
	s_wait_loadcnt 0x0
	global_inv scope:SCOPE_SYS
	s_wait_xcnt 0x0
	v_cmpx_ne_u64_e64 v[4:5], v[6:7]
	s_cbranch_execz .LBB5_581
; %bb.578:
	s_mov_b32 s8, 0
.LBB5_579:                              ; =>This Inner Loop Header: Depth=1
	s_sleep 1
	s_clause 0x1
	global_load_b64 v[8:9], v1, s[4:5] offset:40
	global_load_b64 v[10:11], v1, s[4:5]
	v_mov_b64_e32 v[6:7], v[4:5]
	s_wait_loadcnt 0x1
	s_delay_alu instid0(VALU_DEP_1) | instskip(NEXT) | instid1(VALU_DEP_2)
	v_and_b32_e32 v4, v8, v6
	v_and_b32_e32 v8, v9, v7
	s_wait_loadcnt 0x0
	s_delay_alu instid0(VALU_DEP_2) | instskip(NEXT) | instid1(VALU_DEP_1)
	v_mad_nc_u64_u32 v[4:5], v4, 24, v[10:11]
	v_mad_u32 v5, v8, 24, v5
	global_load_b64 v[4:5], v[4:5], off scope:SCOPE_SYS
	s_wait_xcnt 0x0
	s_wait_loadcnt 0x0
	global_atomic_cmpswap_b64 v[4:5], v1, v[4:7], s[4:5] offset:24 th:TH_ATOMIC_RETURN scope:SCOPE_SYS
	s_wait_loadcnt 0x0
	global_inv scope:SCOPE_SYS
	v_cmp_eq_u64_e32 vcc_lo, v[4:5], v[6:7]
	s_or_b32 s8, vcc_lo, s8
	s_wait_xcnt 0x0
	s_and_not1_b32 exec_lo, exec_lo, s8
	s_cbranch_execnz .LBB5_579
; %bb.580:
	s_or_b32 exec_lo, exec_lo, s8
.LBB5_581:
	s_delay_alu instid0(SALU_CYCLE_1)
	s_or_b32 exec_lo, exec_lo, s7
.LBB5_582:
	s_delay_alu instid0(SALU_CYCLE_1)
	s_or_b32 exec_lo, exec_lo, s6
	v_readfirstlane_b32 s6, v4
	v_mov_b32_e32 v1, 0
	v_readfirstlane_b32 s7, v5
	s_mov_b32 s8, exec_lo
	s_clause 0x1
	global_load_b64 v[10:11], v1, s[4:5] offset:40
	global_load_b128 v[6:9], v1, s[4:5]
	s_wait_loadcnt 0x1
	v_and_b32_e32 v4, s6, v10
	v_and_b32_e32 v5, s7, v11
	s_delay_alu instid0(VALU_DEP_1) | instskip(SKIP_1) | instid1(VALU_DEP_1)
	v_mul_u64_e32 v[10:11], 24, v[4:5]
	s_wait_loadcnt 0x0
	v_add_nc_u64_e32 v[10:11], v[6:7], v[10:11]
	s_wait_xcnt 0x0
	s_and_saveexec_b32 s9, s3
	s_cbranch_execz .LBB5_584
; %bb.583:
	v_mov_b64_e32 v[14:15], 0x100000002
	v_dual_mov_b32 v12, s8 :: v_dual_mov_b32 v13, v1
	global_store_b128 v[10:11], v[12:15], off offset:8
.LBB5_584:
	s_wait_xcnt 0x0
	s_or_b32 exec_lo, exec_lo, s9
	v_lshlrev_b64_e32 v[12:13], 12, v[4:5]
	s_mov_b32 s8, 0
	v_dual_cndmask_b32 v4, -1, v31, s2 :: v_dual_mov_b32 v5, v1
	s_mov_b32 s10, s8
	s_mov_b32 s11, s8
	;; [unrolled: 1-line block ×3, first 2 shown]
	s_delay_alu instid0(VALU_DEP_2) | instskip(SKIP_3) | instid1(VALU_DEP_4)
	v_add_nc_u64_e32 v[12:13], v[8:9], v[12:13]
	v_mov_b64_e32 v[16:17], s[10:11]
	v_mov_b64_e32 v[14:15], s[8:9]
	v_and_or_b32 v2, 0xffffff1f, v2, 32
	v_readfirstlane_b32 s12, v12
	v_readfirstlane_b32 s13, v13
	s_clause 0x3
	global_store_b128 v0, v[2:5], s[12:13]
	global_store_b128 v0, v[14:17], s[12:13] offset:16
	global_store_b128 v0, v[14:17], s[12:13] offset:32
	;; [unrolled: 1-line block ×3, first 2 shown]
	s_wait_xcnt 0x0
	s_and_saveexec_b32 s2, s3
	s_cbranch_execz .LBB5_592
; %bb.585:
	v_dual_mov_b32 v5, 0 :: v_dual_mov_b32 v15, s7
	s_mov_b32 s8, exec_lo
	s_clause 0x1
	global_load_b64 v[16:17], v5, s[4:5] offset:32 scope:SCOPE_SYS
	global_load_b64 v[2:3], v5, s[4:5] offset:40
	s_wait_loadcnt 0x0
	v_dual_mov_b32 v14, s6 :: v_dual_bitop2_b32 v3, s7, v3 bitop3:0x40
	v_and_b32_e32 v2, s6, v2
	s_delay_alu instid0(VALU_DEP_1) | instskip(NEXT) | instid1(VALU_DEP_1)
	v_mul_u64_e32 v[2:3], 24, v[2:3]
	v_add_nc_u64_e32 v[2:3], v[6:7], v[2:3]
	global_store_b64 v[2:3], v[16:17], off
	global_wb scope:SCOPE_SYS
	s_wait_storecnt 0x0
	s_wait_xcnt 0x0
	global_atomic_cmpswap_b64 v[8:9], v5, v[14:17], s[4:5] offset:32 th:TH_ATOMIC_RETURN scope:SCOPE_SYS
	s_wait_loadcnt 0x0
	v_cmpx_ne_u64_e64 v[8:9], v[16:17]
	s_cbranch_execz .LBB5_588
; %bb.586:
	s_mov_b32 s9, 0
.LBB5_587:                              ; =>This Inner Loop Header: Depth=1
	v_dual_mov_b32 v6, s6 :: v_dual_mov_b32 v7, s7
	s_sleep 1
	global_store_b64 v[2:3], v[8:9], off
	global_wb scope:SCOPE_SYS
	s_wait_storecnt 0x0
	s_wait_xcnt 0x0
	global_atomic_cmpswap_b64 v[6:7], v5, v[6:9], s[4:5] offset:32 th:TH_ATOMIC_RETURN scope:SCOPE_SYS
	s_wait_loadcnt 0x0
	v_cmp_eq_u64_e32 vcc_lo, v[6:7], v[8:9]
	v_mov_b64_e32 v[8:9], v[6:7]
	s_or_b32 s9, vcc_lo, s9
	s_delay_alu instid0(SALU_CYCLE_1)
	s_and_not1_b32 exec_lo, exec_lo, s9
	s_cbranch_execnz .LBB5_587
.LBB5_588:
	s_or_b32 exec_lo, exec_lo, s8
	v_mov_b32_e32 v7, 0
	s_mov_b32 s9, exec_lo
	s_mov_b32 s8, exec_lo
	v_mbcnt_lo_u32_b32 v5, s9, 0
	global_load_b64 v[2:3], v7, s[4:5] offset:16
	s_wait_xcnt 0x0
	v_cmpx_eq_u32_e32 0, v5
	s_cbranch_execz .LBB5_590
; %bb.589:
	s_bcnt1_i32_b32 s9, s9
	s_delay_alu instid0(SALU_CYCLE_1)
	v_mov_b32_e32 v6, s9
	global_wb scope:SCOPE_SYS
	s_wait_loadcnt 0x0
	s_wait_storecnt 0x0
	global_atomic_add_u64 v[2:3], v[6:7], off offset:8 scope:SCOPE_SYS
.LBB5_590:
	s_wait_xcnt 0x0
	s_or_b32 exec_lo, exec_lo, s8
	s_wait_loadcnt 0x0
	global_load_b64 v[6:7], v[2:3], off offset:16
	s_wait_loadcnt 0x0
	v_cmp_eq_u64_e32 vcc_lo, 0, v[6:7]
	s_cbranch_vccnz .LBB5_592
; %bb.591:
	global_load_b32 v2, v[2:3], off offset:24
	s_wait_xcnt 0x0
	v_mov_b32_e32 v3, 0
	s_wait_loadcnt 0x0
	v_readfirstlane_b32 s8, v2
	global_wb scope:SCOPE_SYS
	s_wait_storecnt 0x0
	global_store_b64 v[6:7], v[2:3], off scope:SCOPE_SYS
	s_and_b32 m0, s8, 0xffffff
	s_sendmsg sendmsg(MSG_INTERRUPT)
.LBB5_592:
	s_wait_xcnt 0x0
	s_or_b32 exec_lo, exec_lo, s2
	v_add_nc_u64_e32 v[2:3], v[12:13], v[0:1]
	s_branch .LBB5_596
.LBB5_593:                              ;   in Loop: Header=BB5_596 Depth=1
	s_wait_xcnt 0x0
	s_or_b32 exec_lo, exec_lo, s2
	s_delay_alu instid0(VALU_DEP_1)
	v_readfirstlane_b32 s2, v1
	s_cmp_eq_u32 s2, 0
	s_cbranch_scc1 .LBB5_595
; %bb.594:                              ;   in Loop: Header=BB5_596 Depth=1
	s_sleep 1
	s_cbranch_execnz .LBB5_596
	s_branch .LBB5_598
.LBB5_595:
	s_branch .LBB5_598
.LBB5_596:                              ; =>This Inner Loop Header: Depth=1
	v_mov_b32_e32 v1, 1
	s_and_saveexec_b32 s2, s3
	s_cbranch_execz .LBB5_593
; %bb.597:                              ;   in Loop: Header=BB5_596 Depth=1
	global_load_b32 v1, v[10:11], off offset:20 scope:SCOPE_SYS
	s_wait_loadcnt 0x0
	global_inv scope:SCOPE_SYS
	v_and_b32_e32 v1, 1, v1
	s_branch .LBB5_593
.LBB5_598:
	global_load_b64 v[6:7], v[2:3], off
	s_wait_xcnt 0x0
	s_and_saveexec_b32 s8, s3
	s_cbranch_execz .LBB5_602
; %bb.599:
	v_mov_b32_e32 v1, 0
	s_clause 0x2
	global_load_b64 v[2:3], v1, s[4:5] offset:40
	global_load_b64 v[12:13], v1, s[4:5] offset:24 scope:SCOPE_SYS
	global_load_b64 v[8:9], v1, s[4:5]
	s_wait_loadcnt 0x2
	v_readfirstlane_b32 s10, v2
	v_readfirstlane_b32 s11, v3
	s_add_nc_u64 s[2:3], s[10:11], 1
	s_delay_alu instid0(SALU_CYCLE_1) | instskip(NEXT) | instid1(SALU_CYCLE_1)
	s_add_nc_u64 s[6:7], s[2:3], s[6:7]
	s_cmp_eq_u64 s[6:7], 0
	s_cselect_b32 s3, s3, s7
	s_cselect_b32 s2, s2, s6
	v_mov_b32_e32 v11, s3
	s_and_b64 s[6:7], s[2:3], s[10:11]
	v_mov_b32_e32 v10, s2
	s_mul_u64 s[6:7], s[6:7], 24
	s_wait_loadcnt 0x0
	v_add_nc_u64_e32 v[2:3], s[6:7], v[8:9]
	global_store_b64 v[2:3], v[12:13], off
	global_wb scope:SCOPE_SYS
	s_wait_storecnt 0x0
	s_wait_xcnt 0x0
	global_atomic_cmpswap_b64 v[10:11], v1, v[10:13], s[4:5] offset:24 th:TH_ATOMIC_RETURN scope:SCOPE_SYS
	s_wait_loadcnt 0x0
	v_cmp_ne_u64_e32 vcc_lo, v[10:11], v[12:13]
	s_and_b32 exec_lo, exec_lo, vcc_lo
	s_cbranch_execz .LBB5_602
; %bb.600:
	s_mov_b32 s6, 0
.LBB5_601:                              ; =>This Inner Loop Header: Depth=1
	v_dual_mov_b32 v8, s2 :: v_dual_mov_b32 v9, s3
	s_sleep 1
	global_store_b64 v[2:3], v[10:11], off
	global_wb scope:SCOPE_SYS
	s_wait_storecnt 0x0
	s_wait_xcnt 0x0
	global_atomic_cmpswap_b64 v[8:9], v1, v[8:11], s[4:5] offset:24 th:TH_ATOMIC_RETURN scope:SCOPE_SYS
	s_wait_loadcnt 0x0
	v_cmp_eq_u64_e32 vcc_lo, v[8:9], v[10:11]
	v_mov_b64_e32 v[10:11], v[8:9]
	s_or_b32 s6, vcc_lo, s6
	s_delay_alu instid0(SALU_CYCLE_1)
	s_and_not1_b32 exec_lo, exec_lo, s6
	s_cbranch_execnz .LBB5_601
.LBB5_602:
	s_or_b32 exec_lo, exec_lo, s8
	v_readfirstlane_b32 s2, v29
	v_mov_b64_e32 v[2:3], 0
	s_delay_alu instid0(VALU_DEP_2)
	v_cmp_eq_u32_e64 s2, s2, v29
	s_and_saveexec_b32 s3, s2
	s_cbranch_execz .LBB5_608
; %bb.603:
	v_mov_b32_e32 v1, 0
	s_mov_b32 s6, exec_lo
	global_load_b64 v[10:11], v1, s[4:5] offset:24 scope:SCOPE_SYS
	s_wait_loadcnt 0x0
	global_inv scope:SCOPE_SYS
	s_clause 0x1
	global_load_b64 v[2:3], v1, s[4:5] offset:40
	global_load_b64 v[8:9], v1, s[4:5]
	s_wait_loadcnt 0x1
	v_and_b32_e32 v2, v2, v10
	v_and_b32_e32 v3, v3, v11
	s_delay_alu instid0(VALU_DEP_1) | instskip(SKIP_1) | instid1(VALU_DEP_1)
	v_mul_u64_e32 v[2:3], 24, v[2:3]
	s_wait_loadcnt 0x0
	v_add_nc_u64_e32 v[2:3], v[8:9], v[2:3]
	global_load_b64 v[8:9], v[2:3], off scope:SCOPE_SYS
	s_wait_xcnt 0x0
	s_wait_loadcnt 0x0
	global_atomic_cmpswap_b64 v[2:3], v1, v[8:11], s[4:5] offset:24 th:TH_ATOMIC_RETURN scope:SCOPE_SYS
	s_wait_loadcnt 0x0
	global_inv scope:SCOPE_SYS
	s_wait_xcnt 0x0
	v_cmpx_ne_u64_e64 v[2:3], v[10:11]
	s_cbranch_execz .LBB5_607
; %bb.604:
	s_mov_b32 s7, 0
.LBB5_605:                              ; =>This Inner Loop Header: Depth=1
	s_sleep 1
	s_clause 0x1
	global_load_b64 v[8:9], v1, s[4:5] offset:40
	global_load_b64 v[12:13], v1, s[4:5]
	v_mov_b64_e32 v[10:11], v[2:3]
	s_wait_loadcnt 0x1
	s_delay_alu instid0(VALU_DEP_1) | instskip(NEXT) | instid1(VALU_DEP_2)
	v_and_b32_e32 v2, v8, v10
	v_and_b32_e32 v5, v9, v11
	s_wait_loadcnt 0x0
	s_delay_alu instid0(VALU_DEP_2) | instskip(NEXT) | instid1(VALU_DEP_1)
	v_mad_nc_u64_u32 v[2:3], v2, 24, v[12:13]
	v_mad_u32 v3, v5, 24, v3
	global_load_b64 v[8:9], v[2:3], off scope:SCOPE_SYS
	s_wait_xcnt 0x0
	s_wait_loadcnt 0x0
	global_atomic_cmpswap_b64 v[2:3], v1, v[8:11], s[4:5] offset:24 th:TH_ATOMIC_RETURN scope:SCOPE_SYS
	s_wait_loadcnt 0x0
	global_inv scope:SCOPE_SYS
	v_cmp_eq_u64_e32 vcc_lo, v[2:3], v[10:11]
	s_or_b32 s7, vcc_lo, s7
	s_wait_xcnt 0x0
	s_and_not1_b32 exec_lo, exec_lo, s7
	s_cbranch_execnz .LBB5_605
; %bb.606:
	s_or_b32 exec_lo, exec_lo, s7
.LBB5_607:
	s_delay_alu instid0(SALU_CYCLE_1)
	s_or_b32 exec_lo, exec_lo, s6
.LBB5_608:
	s_delay_alu instid0(SALU_CYCLE_1)
	s_or_b32 exec_lo, exec_lo, s3
	v_readfirstlane_b32 s6, v2
	v_mov_b32_e32 v1, 0
	v_readfirstlane_b32 s7, v3
	s_mov_b32 s3, exec_lo
	s_clause 0x1
	global_load_b64 v[8:9], v1, s[4:5] offset:40
	global_load_b128 v[10:13], v1, s[4:5]
	s_wait_loadcnt 0x1
	v_and_b32_e32 v8, s6, v8
	v_and_b32_e32 v9, s7, v9
	s_delay_alu instid0(VALU_DEP_1) | instskip(SKIP_1) | instid1(VALU_DEP_1)
	v_mul_u64_e32 v[2:3], 24, v[8:9]
	s_wait_loadcnt 0x0
	v_add_nc_u64_e32 v[2:3], v[10:11], v[2:3]
	s_wait_xcnt 0x0
	s_and_saveexec_b32 s8, s2
	s_cbranch_execz .LBB5_610
; %bb.609:
	v_mov_b64_e32 v[16:17], 0x100000002
	v_dual_mov_b32 v14, s3 :: v_dual_mov_b32 v15, v1
	global_store_b128 v[2:3], v[14:17], off offset:8
.LBB5_610:
	s_wait_xcnt 0x0
	s_or_b32 exec_lo, exec_lo, s8
	v_lshlrev_b64_e32 v[14:15], 12, v[8:9]
	s_mov_b32 s8, 0
	v_dual_mov_b32 v9, v1 :: v_dual_lshrrev_b32 v8, 4, v28
	s_mov_b32 s10, s8
	s_mov_b32 s11, s8
	;; [unrolled: 1-line block ×3, first 2 shown]
	s_delay_alu instid0(VALU_DEP_2) | instskip(SKIP_3) | instid1(VALU_DEP_4)
	v_add_nc_u64_e32 v[14:15], v[12:13], v[14:15]
	v_mov_b64_e32 v[18:19], s[10:11]
	v_mov_b64_e32 v[16:17], s[8:9]
	v_and_or_b32 v6, 0xffffff1f, v6, 32
	v_readfirstlane_b32 s12, v14
	v_readfirstlane_b32 s13, v15
	s_clause 0x3
	global_store_b128 v0, v[6:9], s[12:13]
	global_store_b128 v0, v[16:19], s[12:13] offset:16
	global_store_b128 v0, v[16:19], s[12:13] offset:32
	;; [unrolled: 1-line block ×3, first 2 shown]
	s_wait_xcnt 0x0
	s_and_saveexec_b32 s3, s2
	s_cbranch_execz .LBB5_618
; %bb.611:
	v_dual_mov_b32 v5, 0 :: v_dual_mov_b32 v17, s7
	s_mov_b32 s8, exec_lo
	s_clause 0x1
	global_load_b64 v[18:19], v5, s[4:5] offset:32 scope:SCOPE_SYS
	global_load_b64 v[6:7], v5, s[4:5] offset:40
	s_wait_loadcnt 0x0
	v_dual_mov_b32 v16, s6 :: v_dual_bitop2_b32 v7, s7, v7 bitop3:0x40
	v_and_b32_e32 v6, s6, v6
	s_delay_alu instid0(VALU_DEP_1) | instskip(NEXT) | instid1(VALU_DEP_1)
	v_mul_u64_e32 v[6:7], 24, v[6:7]
	v_add_nc_u64_e32 v[6:7], v[10:11], v[6:7]
	global_store_b64 v[6:7], v[18:19], off
	global_wb scope:SCOPE_SYS
	s_wait_storecnt 0x0
	s_wait_xcnt 0x0
	global_atomic_cmpswap_b64 v[12:13], v5, v[16:19], s[4:5] offset:32 th:TH_ATOMIC_RETURN scope:SCOPE_SYS
	s_wait_loadcnt 0x0
	v_cmpx_ne_u64_e64 v[12:13], v[18:19]
	s_cbranch_execz .LBB5_614
; %bb.612:
	s_mov_b32 s9, 0
.LBB5_613:                              ; =>This Inner Loop Header: Depth=1
	v_dual_mov_b32 v10, s6 :: v_dual_mov_b32 v11, s7
	s_sleep 1
	global_store_b64 v[6:7], v[12:13], off
	global_wb scope:SCOPE_SYS
	s_wait_storecnt 0x0
	s_wait_xcnt 0x0
	global_atomic_cmpswap_b64 v[10:11], v5, v[10:13], s[4:5] offset:32 th:TH_ATOMIC_RETURN scope:SCOPE_SYS
	s_wait_loadcnt 0x0
	v_cmp_eq_u64_e32 vcc_lo, v[10:11], v[12:13]
	v_mov_b64_e32 v[12:13], v[10:11]
	s_or_b32 s9, vcc_lo, s9
	s_delay_alu instid0(SALU_CYCLE_1)
	s_and_not1_b32 exec_lo, exec_lo, s9
	s_cbranch_execnz .LBB5_613
.LBB5_614:
	s_or_b32 exec_lo, exec_lo, s8
	v_mov_b32_e32 v11, 0
	s_mov_b32 s9, exec_lo
	s_mov_b32 s8, exec_lo
	v_mbcnt_lo_u32_b32 v5, s9, 0
	global_load_b64 v[6:7], v11, s[4:5] offset:16
	s_wait_xcnt 0x0
	v_cmpx_eq_u32_e32 0, v5
	s_cbranch_execz .LBB5_616
; %bb.615:
	s_bcnt1_i32_b32 s9, s9
	s_delay_alu instid0(SALU_CYCLE_1)
	v_mov_b32_e32 v10, s9
	global_wb scope:SCOPE_SYS
	s_wait_loadcnt 0x0
	s_wait_storecnt 0x0
	global_atomic_add_u64 v[6:7], v[10:11], off offset:8 scope:SCOPE_SYS
.LBB5_616:
	s_wait_xcnt 0x0
	s_or_b32 exec_lo, exec_lo, s8
	s_wait_loadcnt 0x0
	global_load_b64 v[10:11], v[6:7], off offset:16
	s_wait_loadcnt 0x0
	v_cmp_eq_u64_e32 vcc_lo, 0, v[10:11]
	s_cbranch_vccnz .LBB5_618
; %bb.617:
	global_load_b32 v6, v[6:7], off offset:24
	s_wait_xcnt 0x0
	v_mov_b32_e32 v7, 0
	s_wait_loadcnt 0x0
	v_readfirstlane_b32 s8, v6
	global_wb scope:SCOPE_SYS
	s_wait_storecnt 0x0
	global_store_b64 v[10:11], v[6:7], off scope:SCOPE_SYS
	s_and_b32 m0, s8, 0xffffff
	s_sendmsg sendmsg(MSG_INTERRUPT)
.LBB5_618:
	s_wait_xcnt 0x0
	s_or_b32 exec_lo, exec_lo, s3
	v_add_nc_u64_e32 v[6:7], v[14:15], v[0:1]
	s_branch .LBB5_622
.LBB5_619:                              ;   in Loop: Header=BB5_622 Depth=1
	s_wait_xcnt 0x0
	s_or_b32 exec_lo, exec_lo, s3
	s_delay_alu instid0(VALU_DEP_1)
	v_readfirstlane_b32 s3, v1
	s_cmp_eq_u32 s3, 0
	s_cbranch_scc1 .LBB5_621
; %bb.620:                              ;   in Loop: Header=BB5_622 Depth=1
	s_sleep 1
	s_cbranch_execnz .LBB5_622
	s_branch .LBB5_624
.LBB5_621:
	s_branch .LBB5_624
.LBB5_622:                              ; =>This Inner Loop Header: Depth=1
	v_mov_b32_e32 v1, 1
	s_and_saveexec_b32 s3, s2
	s_cbranch_execz .LBB5_619
; %bb.623:                              ;   in Loop: Header=BB5_622 Depth=1
	global_load_b32 v1, v[2:3], off offset:20 scope:SCOPE_SYS
	s_wait_loadcnt 0x0
	global_inv scope:SCOPE_SYS
	v_and_b32_e32 v1, 1, v1
	s_branch .LBB5_619
.LBB5_624:
	global_load_b64 v[10:11], v[6:7], off
	s_wait_xcnt 0x0
	s_and_saveexec_b32 s8, s2
	s_cbranch_execz .LBB5_628
; %bb.625:
	v_mov_b32_e32 v1, 0
	s_clause 0x2
	global_load_b64 v[2:3], v1, s[4:5] offset:40
	global_load_b64 v[16:17], v1, s[4:5] offset:24 scope:SCOPE_SYS
	global_load_b64 v[6:7], v1, s[4:5]
	s_wait_loadcnt 0x2
	v_readfirstlane_b32 s10, v2
	v_readfirstlane_b32 s11, v3
	s_add_nc_u64 s[2:3], s[10:11], 1
	s_delay_alu instid0(SALU_CYCLE_1) | instskip(NEXT) | instid1(SALU_CYCLE_1)
	s_add_nc_u64 s[6:7], s[2:3], s[6:7]
	s_cmp_eq_u64 s[6:7], 0
	s_cselect_b32 s3, s3, s7
	s_cselect_b32 s2, s2, s6
	v_mov_b32_e32 v15, s3
	s_and_b64 s[6:7], s[2:3], s[10:11]
	v_mov_b32_e32 v14, s2
	s_mul_u64 s[6:7], s[6:7], 24
	s_wait_loadcnt 0x0
	v_add_nc_u64_e32 v[2:3], s[6:7], v[6:7]
	global_store_b64 v[2:3], v[16:17], off
	global_wb scope:SCOPE_SYS
	s_wait_storecnt 0x0
	s_wait_xcnt 0x0
	global_atomic_cmpswap_b64 v[14:15], v1, v[14:17], s[4:5] offset:24 th:TH_ATOMIC_RETURN scope:SCOPE_SYS
	s_wait_loadcnt 0x0
	v_cmp_ne_u64_e32 vcc_lo, v[14:15], v[16:17]
	s_and_b32 exec_lo, exec_lo, vcc_lo
	s_cbranch_execz .LBB5_628
; %bb.626:
	s_mov_b32 s6, 0
.LBB5_627:                              ; =>This Inner Loop Header: Depth=1
	v_dual_mov_b32 v12, s2 :: v_dual_mov_b32 v13, s3
	s_sleep 1
	global_store_b64 v[2:3], v[14:15], off
	global_wb scope:SCOPE_SYS
	s_wait_storecnt 0x0
	s_wait_xcnt 0x0
	global_atomic_cmpswap_b64 v[6:7], v1, v[12:15], s[4:5] offset:24 th:TH_ATOMIC_RETURN scope:SCOPE_SYS
	s_wait_loadcnt 0x0
	v_cmp_eq_u64_e32 vcc_lo, v[6:7], v[14:15]
	v_mov_b64_e32 v[14:15], v[6:7]
	s_or_b32 s6, vcc_lo, s6
	s_delay_alu instid0(SALU_CYCLE_1)
	s_and_not1_b32 exec_lo, exec_lo, s6
	s_cbranch_execnz .LBB5_627
.LBB5_628:
	s_or_b32 exec_lo, exec_lo, s8
	v_readfirstlane_b32 s2, v29
	v_mov_b64_e32 v[2:3], 0
	s_delay_alu instid0(VALU_DEP_2)
	v_cmp_eq_u32_e64 s2, s2, v29
	s_and_saveexec_b32 s3, s2
	s_cbranch_execz .LBB5_634
; %bb.629:
	v_mov_b32_e32 v1, 0
	s_mov_b32 s6, exec_lo
	global_load_b64 v[14:15], v1, s[4:5] offset:24 scope:SCOPE_SYS
	s_wait_loadcnt 0x0
	global_inv scope:SCOPE_SYS
	s_clause 0x1
	global_load_b64 v[2:3], v1, s[4:5] offset:40
	global_load_b64 v[6:7], v1, s[4:5]
	s_wait_loadcnt 0x1
	v_and_b32_e32 v2, v2, v14
	v_and_b32_e32 v3, v3, v15
	s_delay_alu instid0(VALU_DEP_1) | instskip(SKIP_1) | instid1(VALU_DEP_1)
	v_mul_u64_e32 v[2:3], 24, v[2:3]
	s_wait_loadcnt 0x0
	v_add_nc_u64_e32 v[2:3], v[6:7], v[2:3]
	global_load_b64 v[12:13], v[2:3], off scope:SCOPE_SYS
	s_wait_xcnt 0x0
	s_wait_loadcnt 0x0
	global_atomic_cmpswap_b64 v[2:3], v1, v[12:15], s[4:5] offset:24 th:TH_ATOMIC_RETURN scope:SCOPE_SYS
	s_wait_loadcnt 0x0
	global_inv scope:SCOPE_SYS
	s_wait_xcnt 0x0
	v_cmpx_ne_u64_e64 v[2:3], v[14:15]
	s_cbranch_execz .LBB5_633
; %bb.630:
	s_mov_b32 s7, 0
.LBB5_631:                              ; =>This Inner Loop Header: Depth=1
	s_sleep 1
	s_clause 0x1
	global_load_b64 v[6:7], v1, s[4:5] offset:40
	global_load_b64 v[12:13], v1, s[4:5]
	v_mov_b64_e32 v[14:15], v[2:3]
	s_wait_loadcnt 0x1
	s_delay_alu instid0(VALU_DEP_1) | instskip(NEXT) | instid1(VALU_DEP_2)
	v_and_b32_e32 v2, v6, v14
	v_and_b32_e32 v5, v7, v15
	s_wait_loadcnt 0x0
	s_delay_alu instid0(VALU_DEP_2) | instskip(NEXT) | instid1(VALU_DEP_1)
	v_mad_nc_u64_u32 v[2:3], v2, 24, v[12:13]
	v_mad_u32 v3, v5, 24, v3
	global_load_b64 v[12:13], v[2:3], off scope:SCOPE_SYS
	s_wait_xcnt 0x0
	s_wait_loadcnt 0x0
	global_atomic_cmpswap_b64 v[2:3], v1, v[12:15], s[4:5] offset:24 th:TH_ATOMIC_RETURN scope:SCOPE_SYS
	s_wait_loadcnt 0x0
	global_inv scope:SCOPE_SYS
	v_cmp_eq_u64_e32 vcc_lo, v[2:3], v[14:15]
	s_or_b32 s7, vcc_lo, s7
	s_wait_xcnt 0x0
	s_and_not1_b32 exec_lo, exec_lo, s7
	s_cbranch_execnz .LBB5_631
; %bb.632:
	s_or_b32 exec_lo, exec_lo, s7
.LBB5_633:
	s_delay_alu instid0(SALU_CYCLE_1)
	s_or_b32 exec_lo, exec_lo, s6
.LBB5_634:
	s_delay_alu instid0(SALU_CYCLE_1)
	s_or_b32 exec_lo, exec_lo, s3
	v_readfirstlane_b32 s6, v2
	v_mov_b32_e32 v13, 0
	v_readfirstlane_b32 s7, v3
	s_mov_b32 s3, exec_lo
	s_clause 0x1
	global_load_b64 v[6:7], v13, s[4:5] offset:40
	global_load_b128 v[14:17], v13, s[4:5]
	s_wait_loadcnt 0x1
	v_and_b32_e32 v2, s6, v6
	v_and_b32_e32 v3, s7, v7
	s_delay_alu instid0(VALU_DEP_1) | instskip(SKIP_1) | instid1(VALU_DEP_1)
	v_mul_u64_e32 v[6:7], 24, v[2:3]
	s_wait_loadcnt 0x0
	v_add_nc_u64_e32 v[6:7], v[14:15], v[6:7]
	s_wait_xcnt 0x0
	s_and_saveexec_b32 s8, s2
	s_cbranch_execz .LBB5_636
; %bb.635:
	v_mov_b32_e32 v12, s3
	v_mov_b64_e32 v[20:21], 0x100000002
	s_delay_alu instid0(VALU_DEP_2)
	v_mov_b64_e32 v[18:19], v[12:13]
	global_store_b128 v[6:7], v[18:21], off offset:8
.LBB5_636:
	s_wait_xcnt 0x0
	s_or_b32 exec_lo, exec_lo, s8
	v_lshlrev_b64_e32 v[2:3], 12, v[2:3]
	s_mov_b32 s8, 0
	s_add_co_i32 s22, s22, 15
	s_mov_b32 s10, s8
	s_mov_b32 s11, s8
	;; [unrolled: 1-line block ×3, first 2 shown]
	s_lshr_b32 s3, s22, 4
	v_add_nc_u64_e32 v[2:3], v[16:17], v[2:3]
	v_mov_b64_e32 v[18:19], s[10:11]
	v_mov_b64_e32 v[16:17], s[8:9]
	v_and_or_b32 v10, 0xffffff1d, v10, 34
	v_mov_b32_e32 v12, s3
	v_readfirstlane_b32 s12, v2
	v_readfirstlane_b32 s13, v3
	s_clause 0x3
	global_store_b128 v0, v[10:13], s[12:13]
	global_store_b128 v0, v[16:19], s[12:13] offset:16
	global_store_b128 v0, v[16:19], s[12:13] offset:32
	;; [unrolled: 1-line block ×3, first 2 shown]
	s_wait_xcnt 0x0
	s_and_saveexec_b32 s3, s2
	s_cbranch_execz .LBB5_644
; %bb.637:
	v_mov_b32_e32 v5, 0
	s_mov_b32 s8, exec_lo
	s_clause 0x1
	global_load_b64 v[16:17], v5, s[4:5] offset:32 scope:SCOPE_SYS
	global_load_b64 v[0:1], v5, s[4:5] offset:40
	s_wait_loadcnt 0x0
	v_and_b32_e32 v0, s6, v0
	v_and_b32_e32 v1, s7, v1
	s_delay_alu instid0(VALU_DEP_1) | instskip(NEXT) | instid1(VALU_DEP_1)
	v_mul_u64_e32 v[0:1], 24, v[0:1]
	v_add_nc_u64_e32 v[10:11], v[14:15], v[0:1]
	v_dual_mov_b32 v14, s6 :: v_dual_mov_b32 v15, s7
	global_store_b64 v[10:11], v[16:17], off
	global_wb scope:SCOPE_SYS
	s_wait_storecnt 0x0
	s_wait_xcnt 0x0
	global_atomic_cmpswap_b64 v[2:3], v5, v[14:17], s[4:5] offset:32 th:TH_ATOMIC_RETURN scope:SCOPE_SYS
	s_wait_loadcnt 0x0
	v_cmpx_ne_u64_e64 v[2:3], v[16:17]
	s_cbranch_execz .LBB5_640
; %bb.638:
	s_mov_b32 s9, 0
.LBB5_639:                              ; =>This Inner Loop Header: Depth=1
	v_dual_mov_b32 v0, s6 :: v_dual_mov_b32 v1, s7
	s_sleep 1
	global_store_b64 v[10:11], v[2:3], off
	global_wb scope:SCOPE_SYS
	s_wait_storecnt 0x0
	s_wait_xcnt 0x0
	global_atomic_cmpswap_b64 v[0:1], v5, v[0:3], s[4:5] offset:32 th:TH_ATOMIC_RETURN scope:SCOPE_SYS
	s_wait_loadcnt 0x0
	v_cmp_eq_u64_e32 vcc_lo, v[0:1], v[2:3]
	v_mov_b64_e32 v[2:3], v[0:1]
	s_or_b32 s9, vcc_lo, s9
	s_delay_alu instid0(SALU_CYCLE_1)
	s_and_not1_b32 exec_lo, exec_lo, s9
	s_cbranch_execnz .LBB5_639
.LBB5_640:
	s_or_b32 exec_lo, exec_lo, s8
	v_mov_b32_e32 v3, 0
	s_mov_b32 s9, exec_lo
	s_mov_b32 s8, exec_lo
	v_mbcnt_lo_u32_b32 v2, s9, 0
	global_load_b64 v[0:1], v3, s[4:5] offset:16
	s_wait_xcnt 0x0
	v_cmpx_eq_u32_e32 0, v2
	s_cbranch_execz .LBB5_642
; %bb.641:
	s_bcnt1_i32_b32 s9, s9
	s_delay_alu instid0(SALU_CYCLE_1)
	v_mov_b32_e32 v2, s9
	global_wb scope:SCOPE_SYS
	s_wait_loadcnt 0x0
	s_wait_storecnt 0x0
	global_atomic_add_u64 v[0:1], v[2:3], off offset:8 scope:SCOPE_SYS
.LBB5_642:
	s_wait_xcnt 0x0
	s_or_b32 exec_lo, exec_lo, s8
	s_wait_loadcnt 0x0
	global_load_b64 v[2:3], v[0:1], off offset:16
	s_wait_loadcnt 0x0
	v_cmp_eq_u64_e32 vcc_lo, 0, v[2:3]
	s_cbranch_vccnz .LBB5_644
; %bb.643:
	global_load_b32 v0, v[0:1], off offset:24
	s_wait_xcnt 0x0
	v_mov_b32_e32 v1, 0
	s_wait_loadcnt 0x0
	v_readfirstlane_b32 s8, v0
	global_wb scope:SCOPE_SYS
	s_wait_storecnt 0x0
	global_store_b64 v[2:3], v[0:1], off scope:SCOPE_SYS
	s_and_b32 m0, s8, 0xffffff
	s_sendmsg sendmsg(MSG_INTERRUPT)
.LBB5_644:
	s_wait_xcnt 0x0
	s_or_b32 exec_lo, exec_lo, s3
	s_branch .LBB5_648
.LBB5_645:                              ;   in Loop: Header=BB5_648 Depth=1
	s_wait_xcnt 0x0
	s_or_b32 exec_lo, exec_lo, s3
	s_delay_alu instid0(VALU_DEP_1)
	v_readfirstlane_b32 s3, v0
	s_cmp_eq_u32 s3, 0
	s_cbranch_scc1 .LBB5_647
; %bb.646:                              ;   in Loop: Header=BB5_648 Depth=1
	s_sleep 1
	s_cbranch_execnz .LBB5_648
	s_branch .LBB5_650
.LBB5_647:
	s_branch .LBB5_650
.LBB5_648:                              ; =>This Inner Loop Header: Depth=1
	v_mov_b32_e32 v0, 1
	s_and_saveexec_b32 s3, s2
	s_cbranch_execz .LBB5_645
; %bb.649:                              ;   in Loop: Header=BB5_648 Depth=1
	global_load_b32 v0, v[6:7], off offset:20 scope:SCOPE_SYS
	s_wait_loadcnt 0x0
	global_inv scope:SCOPE_SYS
	v_and_b32_e32 v0, 1, v0
	s_branch .LBB5_645
.LBB5_650:
	s_and_saveexec_b32 s8, s2
	s_cbranch_execz .LBB5_654
; %bb.651:
	v_mov_b32_e32 v5, 0
	s_clause 0x2
	global_load_b64 v[0:1], v5, s[4:5] offset:40
	global_load_b64 v[12:13], v5, s[4:5] offset:24 scope:SCOPE_SYS
	global_load_b64 v[2:3], v5, s[4:5]
	s_wait_loadcnt 0x2
	v_readfirstlane_b32 s10, v0
	v_readfirstlane_b32 s11, v1
	s_add_nc_u64 s[2:3], s[10:11], 1
	s_delay_alu instid0(SALU_CYCLE_1) | instskip(NEXT) | instid1(SALU_CYCLE_1)
	s_add_nc_u64 s[6:7], s[2:3], s[6:7]
	s_cmp_eq_u64 s[6:7], 0
	s_cselect_b32 s3, s3, s7
	s_cselect_b32 s2, s2, s6
	v_mov_b32_e32 v11, s3
	s_and_b64 s[6:7], s[2:3], s[10:11]
	v_mov_b32_e32 v10, s2
	s_mul_u64 s[6:7], s[6:7], 24
	s_wait_loadcnt 0x0
	v_add_nc_u64_e32 v[6:7], s[6:7], v[2:3]
	global_store_b64 v[6:7], v[12:13], off
	global_wb scope:SCOPE_SYS
	s_wait_storecnt 0x0
	s_wait_xcnt 0x0
	global_atomic_cmpswap_b64 v[2:3], v5, v[10:13], s[4:5] offset:24 th:TH_ATOMIC_RETURN scope:SCOPE_SYS
	s_wait_loadcnt 0x0
	v_cmp_ne_u64_e32 vcc_lo, v[2:3], v[12:13]
	s_and_b32 exec_lo, exec_lo, vcc_lo
	s_cbranch_execz .LBB5_654
; %bb.652:
	s_mov_b32 s6, 0
.LBB5_653:                              ; =>This Inner Loop Header: Depth=1
	v_dual_mov_b32 v0, s2 :: v_dual_mov_b32 v1, s3
	s_sleep 1
	global_store_b64 v[6:7], v[2:3], off
	global_wb scope:SCOPE_SYS
	s_wait_storecnt 0x0
	s_wait_xcnt 0x0
	global_atomic_cmpswap_b64 v[0:1], v5, v[0:3], s[4:5] offset:24 th:TH_ATOMIC_RETURN scope:SCOPE_SYS
	s_wait_loadcnt 0x0
	v_cmp_eq_u64_e32 vcc_lo, v[0:1], v[2:3]
	v_mov_b64_e32 v[2:3], v[0:1]
	s_or_b32 s6, vcc_lo, s6
	s_delay_alu instid0(SALU_CYCLE_1)
	s_and_not1_b32 exec_lo, exec_lo, s6
	s_cbranch_execnz .LBB5_653
.LBB5_654:
	s_or_b32 exec_lo, exec_lo, s8
	s_load_b64 s[0:1], s[0:1], 0x0
	s_wait_kmcnt 0x0
	global_store_b32 v8, v4, s[0:1] scale_offset
	s_endpgm
	.section	.rodata,"a",@progbits
	.p2align	6, 0x0
	.amdhsa_kernel _Z32kernel_cg_group_partition_staticILj16EEvPibS0_
		.amdhsa_group_segment_fixed_size 0
		.amdhsa_private_segment_fixed_size 0
		.amdhsa_kernarg_size 280
		.amdhsa_user_sgpr_count 2
		.amdhsa_user_sgpr_dispatch_ptr 0
		.amdhsa_user_sgpr_queue_ptr 0
		.amdhsa_user_sgpr_kernarg_segment_ptr 1
		.amdhsa_user_sgpr_dispatch_id 0
		.amdhsa_user_sgpr_kernarg_preload_length 0
		.amdhsa_user_sgpr_kernarg_preload_offset 0
		.amdhsa_user_sgpr_private_segment_size 0
		.amdhsa_wavefront_size32 1
		.amdhsa_uses_dynamic_stack 0
		.amdhsa_enable_private_segment 0
		.amdhsa_system_sgpr_workgroup_id_x 1
		.amdhsa_system_sgpr_workgroup_id_y 0
		.amdhsa_system_sgpr_workgroup_id_z 0
		.amdhsa_system_sgpr_workgroup_info 0
		.amdhsa_system_vgpr_workitem_id 2
		.amdhsa_next_free_vgpr 36
		.amdhsa_next_free_sgpr 28
		.amdhsa_named_barrier_count 0
		.amdhsa_reserve_vcc 1
		.amdhsa_float_round_mode_32 0
		.amdhsa_float_round_mode_16_64 0
		.amdhsa_float_denorm_mode_32 3
		.amdhsa_float_denorm_mode_16_64 3
		.amdhsa_fp16_overflow 0
		.amdhsa_memory_ordered 1
		.amdhsa_forward_progress 1
		.amdhsa_inst_pref_size 233
		.amdhsa_round_robin_scheduling 0
		.amdhsa_exception_fp_ieee_invalid_op 0
		.amdhsa_exception_fp_denorm_src 0
		.amdhsa_exception_fp_ieee_div_zero 0
		.amdhsa_exception_fp_ieee_overflow 0
		.amdhsa_exception_fp_ieee_underflow 0
		.amdhsa_exception_fp_ieee_inexact 0
		.amdhsa_exception_int_div_zero 0
	.end_amdhsa_kernel
	.section	.text._Z32kernel_cg_group_partition_staticILj16EEvPibS0_,"axG",@progbits,_Z32kernel_cg_group_partition_staticILj16EEvPibS0_,comdat
.Lfunc_end5:
	.size	_Z32kernel_cg_group_partition_staticILj16EEvPibS0_, .Lfunc_end5-_Z32kernel_cg_group_partition_staticILj16EEvPibS0_
                                        ; -- End function
	.set _Z32kernel_cg_group_partition_staticILj16EEvPibS0_.num_vgpr, 36
	.set _Z32kernel_cg_group_partition_staticILj16EEvPibS0_.num_agpr, 0
	.set _Z32kernel_cg_group_partition_staticILj16EEvPibS0_.numbered_sgpr, 28
	.set _Z32kernel_cg_group_partition_staticILj16EEvPibS0_.num_named_barrier, 0
	.set _Z32kernel_cg_group_partition_staticILj16EEvPibS0_.private_seg_size, 0
	.set _Z32kernel_cg_group_partition_staticILj16EEvPibS0_.uses_vcc, 1
	.set _Z32kernel_cg_group_partition_staticILj16EEvPibS0_.uses_flat_scratch, 0
	.set _Z32kernel_cg_group_partition_staticILj16EEvPibS0_.has_dyn_sized_stack, 0
	.set _Z32kernel_cg_group_partition_staticILj16EEvPibS0_.has_recursion, 0
	.set _Z32kernel_cg_group_partition_staticILj16EEvPibS0_.has_indirect_call, 0
	.section	.AMDGPU.csdata,"",@progbits
; Kernel info:
; codeLenInByte = 29708
; TotalNumSgprs: 30
; NumVgprs: 36
; ScratchSize: 0
; MemoryBound: 0
; FloatMode: 240
; IeeeMode: 1
; LDSByteSize: 0 bytes/workgroup (compile time only)
; SGPRBlocks: 0
; VGPRBlocks: 2
; NumSGPRsForWavesPerEU: 30
; NumVGPRsForWavesPerEU: 36
; NamedBarCnt: 0
; Occupancy: 16
; WaveLimiterHint : 1
; COMPUTE_PGM_RSRC2:SCRATCH_EN: 0
; COMPUTE_PGM_RSRC2:USER_SGPR: 2
; COMPUTE_PGM_RSRC2:TRAP_HANDLER: 0
; COMPUTE_PGM_RSRC2:TGID_X_EN: 1
; COMPUTE_PGM_RSRC2:TGID_Y_EN: 0
; COMPUTE_PGM_RSRC2:TGID_Z_EN: 0
; COMPUTE_PGM_RSRC2:TIDIG_COMP_CNT: 2
	.section	.text._Z32kernel_cg_group_partition_staticILj32EEvPibS0_,"axG",@progbits,_Z32kernel_cg_group_partition_staticILj32EEvPibS0_,comdat
	.protected	_Z32kernel_cg_group_partition_staticILj32EEvPibS0_ ; -- Begin function _Z32kernel_cg_group_partition_staticILj32EEvPibS0_
	.globl	_Z32kernel_cg_group_partition_staticILj32EEvPibS0_
	.p2align	8
	.type	_Z32kernel_cg_group_partition_staticILj32EEvPibS0_,@function
_Z32kernel_cg_group_partition_staticILj32EEvPibS0_: ; @_Z32kernel_cg_group_partition_staticILj32EEvPibS0_
; %bb.0:
	s_mov_b64 s[2:3], src_shared_base
	s_clause 0x1
	s_load_b64 s[4:5], s[0:1], 0x24
	s_load_b32 s2, s[0:1], 0x8
	v_bfe_u32 v1, v0, 10, 10
	v_bfe_u32 v2, v0, 20, 10
	s_load_b64 s[6:7], s[0:1], 0x10
	v_and_b32_e32 v0, 0x3ff, v0
	s_wait_kmcnt 0x0
	s_lshr_b32 s8, s4, 16
	s_and_b32 s4, s4, 0xffff
	v_mad_u32_u24 v1, v2, s8, v1
	s_and_b32 s2, 1, s2
	s_and_b32 s5, s5, 0xffff
	s_cmp_lg_u32 0, -1
	s_mul_i32 s22, s8, s4
	v_mad_u32 v28, v1, s4, v0
	s_cselect_b32 s9, 0, 0
	s_cselect_b32 s3, s3, 0
	s_cmp_eq_u32 s2, 1
	s_mul_i32 s22, s22, s5
	s_cselect_b32 s7, s7, s3
	s_cselect_b32 s6, s6, s9
	s_cmp_lt_u32 s22, 2
	s_mov_b32 s3, 0
	s_delay_alu instid0(VALU_DEP_1)
	v_mov_b32_e32 v31, v28
	s_cbranch_scc1 .LBB6_6
; %bb.1:
	v_dual_ashrrev_i32 v29, 31, v28 :: v_dual_mov_b32 v31, v28
	s_mov_b32 s4, s22
	s_delay_alu instid0(VALU_DEP_1)
	v_lshl_add_u64 v[0:1], v[28:29], 2, s[6:7]
.LBB6_2:                                ; =>This Inner Loop Header: Depth=1
	s_lshr_b32 s2, s4, 1
	s_mov_b32 s5, exec_lo
	flat_store_b32 v[0:1], v31
	s_wait_storecnt_dscnt 0x0
	s_barrier_signal -1
	s_barrier_wait -1
	s_wait_xcnt 0x0
	v_cmpx_gt_i32_e64 s2, v28
	s_cbranch_execz .LBB6_4
; %bb.3:                                ;   in Loop: Header=BB6_2 Depth=1
	v_lshl_add_u64 v[2:3], s[2:3], 2, v[0:1]
	flat_load_b32 v2, v[2:3]
	s_wait_loadcnt_dscnt 0x0
	v_add_nc_u32_e32 v31, v2, v31
.LBB6_4:                                ;   in Loop: Header=BB6_2 Depth=1
	s_or_b32 exec_lo, exec_lo, s5
	s_cmp_gt_u32 s4, 3
	s_barrier_signal -1
	s_barrier_wait -1
	s_cbranch_scc0 .LBB6_6
; %bb.5:                                ;   in Loop: Header=BB6_2 Depth=1
	s_mov_b32 s4, s2
	s_branch .LBB6_2
.LBB6_6:
	v_cmp_eq_u32_e64 s2, 0, v28
	s_add_nc_u64 s[4:5], s[0:1], 24
	s_and_saveexec_b32 s23, s2
	s_cbranch_execz .LBB6_403
; %bb.7:
	s_load_b64 s[8:9], s[4:5], 0x50
	v_mbcnt_lo_u32_b32 v29, -1, 0
	v_mov_b64_e32 v[2:3], 0
	s_delay_alu instid0(VALU_DEP_2) | instskip(NEXT) | instid1(VALU_DEP_1)
	v_readfirstlane_b32 s3, v29
	v_cmp_eq_u32_e64 s3, s3, v29
	s_and_saveexec_b32 s10, s3
	s_cbranch_execz .LBB6_13
; %bb.8:
	v_mov_b32_e32 v0, 0
	s_mov_b32 s11, exec_lo
	s_wait_kmcnt 0x0
	global_load_b64 v[4:5], v0, s[8:9] offset:24 scope:SCOPE_SYS
	s_wait_loadcnt 0x0
	global_inv scope:SCOPE_SYS
	s_clause 0x1
	global_load_b64 v[2:3], v0, s[8:9] offset:40
	global_load_b64 v[6:7], v0, s[8:9]
	s_wait_loadcnt 0x1
	v_and_b32_e32 v2, v2, v4
	v_and_b32_e32 v3, v3, v5
	s_delay_alu instid0(VALU_DEP_1) | instskip(SKIP_1) | instid1(VALU_DEP_1)
	v_mul_u64_e32 v[2:3], 24, v[2:3]
	s_wait_loadcnt 0x0
	v_add_nc_u64_e32 v[2:3], v[6:7], v[2:3]
	global_load_b64 v[2:3], v[2:3], off scope:SCOPE_SYS
	s_wait_xcnt 0x0
	s_wait_loadcnt 0x0
	global_atomic_cmpswap_b64 v[2:3], v0, v[2:5], s[8:9] offset:24 th:TH_ATOMIC_RETURN scope:SCOPE_SYS
	s_wait_loadcnt 0x0
	global_inv scope:SCOPE_SYS
	s_wait_xcnt 0x0
	v_cmpx_ne_u64_e64 v[2:3], v[4:5]
	s_cbranch_execz .LBB6_12
; %bb.9:
	s_mov_b32 s12, 0
.LBB6_10:                               ; =>This Inner Loop Header: Depth=1
	s_sleep 1
	s_clause 0x1
	global_load_b64 v[6:7], v0, s[8:9] offset:40
	global_load_b64 v[8:9], v0, s[8:9]
	v_mov_b64_e32 v[4:5], v[2:3]
	s_wait_loadcnt 0x1
	s_delay_alu instid0(VALU_DEP_1) | instskip(SKIP_1) | instid1(VALU_DEP_1)
	v_and_b32_e32 v1, v6, v4
	s_wait_loadcnt 0x0
	v_mad_nc_u64_u32 v[2:3], v1, 24, v[8:9]
	s_delay_alu instid0(VALU_DEP_3) | instskip(NEXT) | instid1(VALU_DEP_1)
	v_and_b32_e32 v1, v7, v5
	v_mad_u32 v3, v1, 24, v3
	global_load_b64 v[2:3], v[2:3], off scope:SCOPE_SYS
	s_wait_xcnt 0x0
	s_wait_loadcnt 0x0
	global_atomic_cmpswap_b64 v[2:3], v0, v[2:5], s[8:9] offset:24 th:TH_ATOMIC_RETURN scope:SCOPE_SYS
	s_wait_loadcnt 0x0
	global_inv scope:SCOPE_SYS
	v_cmp_eq_u64_e32 vcc_lo, v[2:3], v[4:5]
	s_or_b32 s12, vcc_lo, s12
	s_wait_xcnt 0x0
	s_and_not1_b32 exec_lo, exec_lo, s12
	s_cbranch_execnz .LBB6_10
; %bb.11:
	s_or_b32 exec_lo, exec_lo, s12
.LBB6_12:
	s_delay_alu instid0(SALU_CYCLE_1)
	s_or_b32 exec_lo, exec_lo, s11
.LBB6_13:
	s_delay_alu instid0(SALU_CYCLE_1)
	s_or_b32 exec_lo, exec_lo, s10
	v_readfirstlane_b32 s10, v2
	v_mov_b32_e32 v1, 0
	v_readfirstlane_b32 s11, v3
	s_mov_b32 s12, exec_lo
	s_wait_kmcnt 0x0
	s_clause 0x1
	global_load_b64 v[8:9], v1, s[8:9] offset:40
	global_load_b128 v[4:7], v1, s[8:9]
	s_wait_loadcnt 0x1
	v_and_b32_e32 v10, s10, v8
	v_and_b32_e32 v11, s11, v9
	s_delay_alu instid0(VALU_DEP_1) | instskip(SKIP_1) | instid1(VALU_DEP_1)
	v_mul_u64_e32 v[2:3], 24, v[10:11]
	s_wait_loadcnt 0x0
	v_add_nc_u64_e32 v[8:9], v[4:5], v[2:3]
	s_and_saveexec_b32 s13, s3
	s_cbranch_execz .LBB6_15
; %bb.14:
	v_mov_b64_e32 v[2:3], 0x100000002
	v_mov_b32_e32 v0, s12
	global_store_b128 v[8:9], v[0:3], off offset:8
.LBB6_15:
	s_wait_xcnt 0x0
	s_or_b32 exec_lo, exec_lo, s13
	v_lshlrev_b64_e32 v[2:3], 12, v[10:11]
	s_mov_b32 s12, 0
	v_dual_lshlrev_b32 v0, 6, v29 :: v_dual_mov_b32 v10, 33
	s_mov_b32 s14, s12
	s_mov_b32 s15, s12
	;; [unrolled: 1-line block ×3, first 2 shown]
	s_delay_alu instid0(VALU_DEP_2)
	v_add_nc_u64_e32 v[6:7], v[6:7], v[2:3]
	v_mov_b64_e32 v[16:17], s[14:15]
	v_mov_b64_e32 v[14:15], s[12:13]
	v_dual_mov_b32 v11, v1 :: v_dual_mov_b32 v12, v1
	v_mov_b32_e32 v13, v1
	v_readfirstlane_b32 s16, v6
	v_readfirstlane_b32 s17, v7
	s_clause 0x3
	global_store_b128 v0, v[10:13], s[16:17]
	global_store_b128 v0, v[14:17], s[16:17] offset:16
	global_store_b128 v0, v[14:17], s[16:17] offset:32
	;; [unrolled: 1-line block ×3, first 2 shown]
	s_wait_xcnt 0x0
	s_and_saveexec_b32 s12, s3
	s_cbranch_execz .LBB6_23
; %bb.16:
	v_dual_mov_b32 v12, 0 :: v_dual_mov_b32 v15, s11
	s_mov_b32 s13, exec_lo
	s_clause 0x1
	global_load_b64 v[16:17], v12, s[8:9] offset:32 scope:SCOPE_SYS
	global_load_b64 v[2:3], v12, s[8:9] offset:40
	s_wait_loadcnt 0x0
	v_dual_mov_b32 v14, s10 :: v_dual_bitop2_b32 v3, s11, v3 bitop3:0x40
	v_and_b32_e32 v2, s10, v2
	s_delay_alu instid0(VALU_DEP_1) | instskip(NEXT) | instid1(VALU_DEP_1)
	v_mul_u64_e32 v[2:3], 24, v[2:3]
	v_add_nc_u64_e32 v[10:11], v[4:5], v[2:3]
	global_store_b64 v[10:11], v[16:17], off
	global_wb scope:SCOPE_SYS
	s_wait_storecnt 0x0
	s_wait_xcnt 0x0
	global_atomic_cmpswap_b64 v[4:5], v12, v[14:17], s[8:9] offset:32 th:TH_ATOMIC_RETURN scope:SCOPE_SYS
	s_wait_loadcnt 0x0
	v_cmpx_ne_u64_e64 v[4:5], v[16:17]
	s_cbranch_execz .LBB6_19
; %bb.17:
	s_mov_b32 s14, 0
.LBB6_18:                               ; =>This Inner Loop Header: Depth=1
	v_dual_mov_b32 v2, s10 :: v_dual_mov_b32 v3, s11
	s_sleep 1
	global_store_b64 v[10:11], v[4:5], off
	global_wb scope:SCOPE_SYS
	s_wait_storecnt 0x0
	s_wait_xcnt 0x0
	global_atomic_cmpswap_b64 v[2:3], v12, v[2:5], s[8:9] offset:32 th:TH_ATOMIC_RETURN scope:SCOPE_SYS
	s_wait_loadcnt 0x0
	v_cmp_eq_u64_e32 vcc_lo, v[2:3], v[4:5]
	v_mov_b64_e32 v[4:5], v[2:3]
	s_or_b32 s14, vcc_lo, s14
	s_delay_alu instid0(SALU_CYCLE_1)
	s_and_not1_b32 exec_lo, exec_lo, s14
	s_cbranch_execnz .LBB6_18
.LBB6_19:
	s_or_b32 exec_lo, exec_lo, s13
	v_mov_b32_e32 v5, 0
	s_mov_b32 s14, exec_lo
	s_mov_b32 s13, exec_lo
	v_mbcnt_lo_u32_b32 v4, s14, 0
	global_load_b64 v[2:3], v5, s[8:9] offset:16
	s_wait_xcnt 0x0
	v_cmpx_eq_u32_e32 0, v4
	s_cbranch_execz .LBB6_21
; %bb.20:
	s_bcnt1_i32_b32 s14, s14
	s_delay_alu instid0(SALU_CYCLE_1)
	v_mov_b32_e32 v4, s14
	global_wb scope:SCOPE_SYS
	s_wait_loadcnt 0x0
	s_wait_storecnt 0x0
	global_atomic_add_u64 v[2:3], v[4:5], off offset:8 scope:SCOPE_SYS
.LBB6_21:
	s_wait_xcnt 0x0
	s_or_b32 exec_lo, exec_lo, s13
	s_wait_loadcnt 0x0
	global_load_b64 v[4:5], v[2:3], off offset:16
	s_wait_loadcnt 0x0
	v_cmp_eq_u64_e32 vcc_lo, 0, v[4:5]
	s_cbranch_vccnz .LBB6_23
; %bb.22:
	global_load_b32 v2, v[2:3], off offset:24
	s_wait_xcnt 0x0
	v_mov_b32_e32 v3, 0
	s_wait_loadcnt 0x0
	v_readfirstlane_b32 s13, v2
	global_wb scope:SCOPE_SYS
	s_wait_storecnt 0x0
	global_store_b64 v[4:5], v[2:3], off scope:SCOPE_SYS
	s_and_b32 m0, s13, 0xffffff
	s_sendmsg sendmsg(MSG_INTERRUPT)
.LBB6_23:
	s_wait_xcnt 0x0
	s_or_b32 exec_lo, exec_lo, s12
	v_add_nc_u64_e32 v[2:3], v[6:7], v[0:1]
	s_branch .LBB6_27
.LBB6_24:                               ;   in Loop: Header=BB6_27 Depth=1
	s_wait_xcnt 0x0
	s_or_b32 exec_lo, exec_lo, s12
	s_delay_alu instid0(VALU_DEP_1)
	v_readfirstlane_b32 s12, v1
	s_cmp_eq_u32 s12, 0
	s_cbranch_scc1 .LBB6_26
; %bb.25:                               ;   in Loop: Header=BB6_27 Depth=1
	s_sleep 1
	s_cbranch_execnz .LBB6_27
	s_branch .LBB6_29
.LBB6_26:
	s_branch .LBB6_29
.LBB6_27:                               ; =>This Inner Loop Header: Depth=1
	v_mov_b32_e32 v1, 1
	s_and_saveexec_b32 s12, s3
	s_cbranch_execz .LBB6_24
; %bb.28:                               ;   in Loop: Header=BB6_27 Depth=1
	global_load_b32 v1, v[8:9], off offset:20 scope:SCOPE_SYS
	s_wait_loadcnt 0x0
	global_inv scope:SCOPE_SYS
	v_and_b32_e32 v1, 1, v1
	s_branch .LBB6_24
.LBB6_29:
	global_load_b64 v[2:3], v[2:3], off
	s_wait_xcnt 0x0
	s_and_saveexec_b32 s12, s3
	s_cbranch_execz .LBB6_33
; %bb.30:
	v_mov_b32_e32 v1, 0
	s_clause 0x2
	global_load_b64 v[4:5], v1, s[8:9] offset:40
	global_load_b64 v[12:13], v1, s[8:9] offset:24 scope:SCOPE_SYS
	global_load_b64 v[6:7], v1, s[8:9]
	s_wait_loadcnt 0x2
	v_readfirstlane_b32 s14, v4
	v_readfirstlane_b32 s15, v5
	s_add_nc_u64 s[16:17], s[14:15], 1
	s_delay_alu instid0(SALU_CYCLE_1) | instskip(NEXT) | instid1(SALU_CYCLE_1)
	s_add_nc_u64 s[10:11], s[16:17], s[10:11]
	s_cmp_eq_u64 s[10:11], 0
	s_cselect_b32 s11, s17, s11
	s_cselect_b32 s10, s16, s10
	v_mov_b32_e32 v11, s11
	s_and_b64 s[14:15], s[10:11], s[14:15]
	v_mov_b32_e32 v10, s10
	s_mul_u64 s[14:15], s[14:15], 24
	s_wait_loadcnt 0x0
	v_add_nc_u64_e32 v[8:9], s[14:15], v[6:7]
	global_store_b64 v[8:9], v[12:13], off
	global_wb scope:SCOPE_SYS
	s_wait_storecnt 0x0
	s_wait_xcnt 0x0
	global_atomic_cmpswap_b64 v[6:7], v1, v[10:13], s[8:9] offset:24 th:TH_ATOMIC_RETURN scope:SCOPE_SYS
	s_wait_loadcnt 0x0
	v_cmp_ne_u64_e32 vcc_lo, v[6:7], v[12:13]
	s_and_b32 exec_lo, exec_lo, vcc_lo
	s_cbranch_execz .LBB6_33
; %bb.31:
	s_mov_b32 s3, 0
.LBB6_32:                               ; =>This Inner Loop Header: Depth=1
	v_dual_mov_b32 v4, s10 :: v_dual_mov_b32 v5, s11
	s_sleep 1
	global_store_b64 v[8:9], v[6:7], off
	global_wb scope:SCOPE_SYS
	s_wait_storecnt 0x0
	s_wait_xcnt 0x0
	global_atomic_cmpswap_b64 v[4:5], v1, v[4:7], s[8:9] offset:24 th:TH_ATOMIC_RETURN scope:SCOPE_SYS
	s_wait_loadcnt 0x0
	v_cmp_eq_u64_e32 vcc_lo, v[4:5], v[6:7]
	v_mov_b64_e32 v[6:7], v[4:5]
	s_or_b32 s3, vcc_lo, s3
	s_delay_alu instid0(SALU_CYCLE_1)
	s_and_not1_b32 exec_lo, exec_lo, s3
	s_cbranch_execnz .LBB6_32
.LBB6_33:
	s_or_b32 exec_lo, exec_lo, s12
	s_get_pc_i64 s[10:11]
	s_add_nc_u64 s[10:11], s[10:11], .str.8@rel64+4
	s_delay_alu instid0(SALU_CYCLE_1)
	s_cmp_lg_u64 s[10:11], 0
	s_cbranch_scc0 .LBB6_112
; %bb.34:
	v_mov_b64_e32 v[10:11], 0x100000002
	s_wait_loadcnt 0x0
	v_dual_mov_b32 v9, 0 :: v_dual_bitop2_b32 v30, 2, v2 bitop3:0x40
	v_dual_mov_b32 v5, v3 :: v_dual_bitop2_b32 v4, -3, v2 bitop3:0x40
	s_mov_b64 s[12:13], 0x4d
	s_branch .LBB6_36
.LBB6_35:                               ;   in Loop: Header=BB6_36 Depth=1
	s_or_b32 exec_lo, exec_lo, s18
	s_sub_nc_u64 s[12:13], s[12:13], s[14:15]
	s_add_nc_u64 s[10:11], s[10:11], s[14:15]
	s_cmp_lg_u64 s[12:13], 0
	s_cbranch_scc0 .LBB6_111
.LBB6_36:                               ; =>This Loop Header: Depth=1
                                        ;     Child Loop BB6_39 Depth 2
                                        ;     Child Loop BB6_46 Depth 2
	;; [unrolled: 1-line block ×11, first 2 shown]
	v_min_u64 v[6:7], s[12:13], 56
	v_cmp_gt_u64_e64 s3, s[12:13], 7
	s_and_b32 vcc_lo, exec_lo, s3
	v_readfirstlane_b32 s14, v6
	v_readfirstlane_b32 s15, v7
	s_cbranch_vccnz .LBB6_41
; %bb.37:                               ;   in Loop: Header=BB6_36 Depth=1
	v_mov_b64_e32 v[6:7], 0
	s_cmp_eq_u64 s[12:13], 0
	s_cbranch_scc1 .LBB6_40
; %bb.38:                               ;   in Loop: Header=BB6_36 Depth=1
	s_mov_b64 s[16:17], 0
	s_mov_b64 s[18:19], 0
.LBB6_39:                               ;   Parent Loop BB6_36 Depth=1
                                        ; =>  This Inner Loop Header: Depth=2
	s_wait_xcnt 0x0
	s_add_nc_u64 s[20:21], s[10:11], s[18:19]
	s_add_nc_u64 s[18:19], s[18:19], 1
	global_load_u8 v1, v9, s[20:21]
	s_cmp_lg_u32 s14, s18
	s_wait_loadcnt 0x0
	v_and_b32_e32 v8, 0xffff, v1
	s_delay_alu instid0(VALU_DEP_1) | instskip(SKIP_1) | instid1(VALU_DEP_1)
	v_lshlrev_b64_e32 v[12:13], s16, v[8:9]
	s_add_nc_u64 s[16:17], s[16:17], 8
	v_or_b32_e32 v6, v12, v6
	s_delay_alu instid0(VALU_DEP_2)
	v_or_b32_e32 v7, v13, v7
	s_cbranch_scc1 .LBB6_39
.LBB6_40:                               ;   in Loop: Header=BB6_36 Depth=1
	s_mov_b64 s[18:19], s[10:11]
	s_mov_b32 s3, 0
	s_cbranch_execz .LBB6_42
	s_branch .LBB6_43
.LBB6_41:                               ;   in Loop: Header=BB6_36 Depth=1
	s_add_nc_u64 s[18:19], s[10:11], 8
	s_mov_b32 s3, 0
.LBB6_42:                               ;   in Loop: Header=BB6_36 Depth=1
	global_load_b64 v[6:7], v9, s[10:11]
	s_add_co_i32 s3, s14, -8
.LBB6_43:                               ;   in Loop: Header=BB6_36 Depth=1
	s_delay_alu instid0(SALU_CYCLE_1)
	s_cmp_gt_u32 s3, 7
	s_cbranch_scc1 .LBB6_48
; %bb.44:                               ;   in Loop: Header=BB6_36 Depth=1
	v_mov_b64_e32 v[12:13], 0
	s_cmp_eq_u32 s3, 0
	s_cbranch_scc1 .LBB6_47
; %bb.45:                               ;   in Loop: Header=BB6_36 Depth=1
	s_mov_b64 s[16:17], 0
	s_wait_xcnt 0x0
	s_mov_b64 s[20:21], 0
.LBB6_46:                               ;   Parent Loop BB6_36 Depth=1
                                        ; =>  This Inner Loop Header: Depth=2
	s_wait_xcnt 0x0
	s_add_nc_u64 s[24:25], s[18:19], s[20:21]
	s_add_nc_u64 s[20:21], s[20:21], 1
	global_load_u8 v1, v9, s[24:25]
	s_cmp_lg_u32 s3, s20
	s_wait_loadcnt 0x0
	v_and_b32_e32 v8, 0xffff, v1
	s_delay_alu instid0(VALU_DEP_1) | instskip(SKIP_1) | instid1(VALU_DEP_1)
	v_lshlrev_b64_e32 v[14:15], s16, v[8:9]
	s_add_nc_u64 s[16:17], s[16:17], 8
	v_or_b32_e32 v12, v14, v12
	s_delay_alu instid0(VALU_DEP_2)
	v_or_b32_e32 v13, v15, v13
	s_cbranch_scc1 .LBB6_46
.LBB6_47:                               ;   in Loop: Header=BB6_36 Depth=1
	s_wait_xcnt 0x0
	s_mov_b64 s[16:17], s[18:19]
	s_mov_b32 s24, 0
	s_cbranch_execz .LBB6_49
	s_branch .LBB6_50
.LBB6_48:                               ;   in Loop: Header=BB6_36 Depth=1
	s_add_nc_u64 s[16:17], s[18:19], 8
	s_wait_xcnt 0x0
                                        ; implicit-def: $vgpr12_vgpr13
	s_mov_b32 s24, 0
.LBB6_49:                               ;   in Loop: Header=BB6_36 Depth=1
	global_load_b64 v[12:13], v9, s[18:19]
	s_add_co_i32 s24, s3, -8
.LBB6_50:                               ;   in Loop: Header=BB6_36 Depth=1
	s_delay_alu instid0(SALU_CYCLE_1)
	s_cmp_gt_u32 s24, 7
	s_cbranch_scc1 .LBB6_55
; %bb.51:                               ;   in Loop: Header=BB6_36 Depth=1
	v_mov_b64_e32 v[14:15], 0
	s_cmp_eq_u32 s24, 0
	s_cbranch_scc1 .LBB6_54
; %bb.52:                               ;   in Loop: Header=BB6_36 Depth=1
	s_wait_xcnt 0x0
	s_mov_b64 s[18:19], 0
	s_mov_b64 s[20:21], 0
.LBB6_53:                               ;   Parent Loop BB6_36 Depth=1
                                        ; =>  This Inner Loop Header: Depth=2
	s_wait_xcnt 0x0
	s_add_nc_u64 s[26:27], s[16:17], s[20:21]
	s_add_nc_u64 s[20:21], s[20:21], 1
	global_load_u8 v1, v9, s[26:27]
	s_cmp_lg_u32 s24, s20
	s_wait_loadcnt 0x0
	v_and_b32_e32 v8, 0xffff, v1
	s_delay_alu instid0(VALU_DEP_1) | instskip(SKIP_1) | instid1(VALU_DEP_1)
	v_lshlrev_b64_e32 v[16:17], s18, v[8:9]
	s_add_nc_u64 s[18:19], s[18:19], 8
	v_or_b32_e32 v14, v16, v14
	s_delay_alu instid0(VALU_DEP_2)
	v_or_b32_e32 v15, v17, v15
	s_cbranch_scc1 .LBB6_53
.LBB6_54:                               ;   in Loop: Header=BB6_36 Depth=1
	s_wait_xcnt 0x0
	s_mov_b64 s[18:19], s[16:17]
	s_mov_b32 s3, 0
	s_cbranch_execz .LBB6_56
	s_branch .LBB6_57
.LBB6_55:                               ;   in Loop: Header=BB6_36 Depth=1
	s_wait_xcnt 0x0
	s_add_nc_u64 s[18:19], s[16:17], 8
	s_mov_b32 s3, 0
.LBB6_56:                               ;   in Loop: Header=BB6_36 Depth=1
	global_load_b64 v[14:15], v9, s[16:17]
	s_add_co_i32 s3, s24, -8
.LBB6_57:                               ;   in Loop: Header=BB6_36 Depth=1
	s_delay_alu instid0(SALU_CYCLE_1)
	s_cmp_gt_u32 s3, 7
	s_cbranch_scc1 .LBB6_62
; %bb.58:                               ;   in Loop: Header=BB6_36 Depth=1
	v_mov_b64_e32 v[16:17], 0
	s_cmp_eq_u32 s3, 0
	s_cbranch_scc1 .LBB6_61
; %bb.59:                               ;   in Loop: Header=BB6_36 Depth=1
	s_wait_xcnt 0x0
	s_mov_b64 s[16:17], 0
	s_mov_b64 s[20:21], 0
.LBB6_60:                               ;   Parent Loop BB6_36 Depth=1
                                        ; =>  This Inner Loop Header: Depth=2
	s_wait_xcnt 0x0
	s_add_nc_u64 s[24:25], s[18:19], s[20:21]
	s_add_nc_u64 s[20:21], s[20:21], 1
	global_load_u8 v1, v9, s[24:25]
	s_cmp_lg_u32 s3, s20
	s_wait_loadcnt 0x0
	v_and_b32_e32 v8, 0xffff, v1
	s_delay_alu instid0(VALU_DEP_1) | instskip(SKIP_1) | instid1(VALU_DEP_1)
	v_lshlrev_b64_e32 v[18:19], s16, v[8:9]
	s_add_nc_u64 s[16:17], s[16:17], 8
	v_or_b32_e32 v16, v18, v16
	s_delay_alu instid0(VALU_DEP_2)
	v_or_b32_e32 v17, v19, v17
	s_cbranch_scc1 .LBB6_60
.LBB6_61:                               ;   in Loop: Header=BB6_36 Depth=1
	s_wait_xcnt 0x0
	s_mov_b64 s[16:17], s[18:19]
	s_mov_b32 s24, 0
	s_cbranch_execz .LBB6_63
	s_branch .LBB6_64
.LBB6_62:                               ;   in Loop: Header=BB6_36 Depth=1
	s_wait_xcnt 0x0
	s_add_nc_u64 s[16:17], s[18:19], 8
                                        ; implicit-def: $vgpr16_vgpr17
	s_mov_b32 s24, 0
.LBB6_63:                               ;   in Loop: Header=BB6_36 Depth=1
	global_load_b64 v[16:17], v9, s[18:19]
	s_add_co_i32 s24, s3, -8
.LBB6_64:                               ;   in Loop: Header=BB6_36 Depth=1
	s_delay_alu instid0(SALU_CYCLE_1)
	s_cmp_gt_u32 s24, 7
	s_cbranch_scc1 .LBB6_69
; %bb.65:                               ;   in Loop: Header=BB6_36 Depth=1
	v_mov_b64_e32 v[18:19], 0
	s_cmp_eq_u32 s24, 0
	s_cbranch_scc1 .LBB6_68
; %bb.66:                               ;   in Loop: Header=BB6_36 Depth=1
	s_wait_xcnt 0x0
	s_mov_b64 s[18:19], 0
	s_mov_b64 s[20:21], 0
.LBB6_67:                               ;   Parent Loop BB6_36 Depth=1
                                        ; =>  This Inner Loop Header: Depth=2
	s_wait_xcnt 0x0
	s_add_nc_u64 s[26:27], s[16:17], s[20:21]
	s_add_nc_u64 s[20:21], s[20:21], 1
	global_load_u8 v1, v9, s[26:27]
	s_cmp_lg_u32 s24, s20
	s_wait_loadcnt 0x0
	v_and_b32_e32 v8, 0xffff, v1
	s_delay_alu instid0(VALU_DEP_1) | instskip(SKIP_1) | instid1(VALU_DEP_1)
	v_lshlrev_b64_e32 v[20:21], s18, v[8:9]
	s_add_nc_u64 s[18:19], s[18:19], 8
	v_or_b32_e32 v18, v20, v18
	s_delay_alu instid0(VALU_DEP_2)
	v_or_b32_e32 v19, v21, v19
	s_cbranch_scc1 .LBB6_67
.LBB6_68:                               ;   in Loop: Header=BB6_36 Depth=1
	s_wait_xcnt 0x0
	s_mov_b64 s[18:19], s[16:17]
	s_mov_b32 s3, 0
	s_cbranch_execz .LBB6_70
	s_branch .LBB6_71
.LBB6_69:                               ;   in Loop: Header=BB6_36 Depth=1
	s_wait_xcnt 0x0
	s_add_nc_u64 s[18:19], s[16:17], 8
	s_mov_b32 s3, 0
.LBB6_70:                               ;   in Loop: Header=BB6_36 Depth=1
	global_load_b64 v[18:19], v9, s[16:17]
	s_add_co_i32 s3, s24, -8
.LBB6_71:                               ;   in Loop: Header=BB6_36 Depth=1
	s_delay_alu instid0(SALU_CYCLE_1)
	s_cmp_gt_u32 s3, 7
	s_cbranch_scc1 .LBB6_76
; %bb.72:                               ;   in Loop: Header=BB6_36 Depth=1
	v_mov_b64_e32 v[20:21], 0
	s_cmp_eq_u32 s3, 0
	s_cbranch_scc1 .LBB6_75
; %bb.73:                               ;   in Loop: Header=BB6_36 Depth=1
	s_wait_xcnt 0x0
	s_mov_b64 s[16:17], 0
	s_mov_b64 s[20:21], 0
.LBB6_74:                               ;   Parent Loop BB6_36 Depth=1
                                        ; =>  This Inner Loop Header: Depth=2
	s_wait_xcnt 0x0
	s_add_nc_u64 s[24:25], s[18:19], s[20:21]
	s_add_nc_u64 s[20:21], s[20:21], 1
	global_load_u8 v1, v9, s[24:25]
	s_cmp_lg_u32 s3, s20
	s_wait_loadcnt 0x0
	v_and_b32_e32 v8, 0xffff, v1
	s_delay_alu instid0(VALU_DEP_1) | instskip(SKIP_1) | instid1(VALU_DEP_1)
	v_lshlrev_b64_e32 v[22:23], s16, v[8:9]
	s_add_nc_u64 s[16:17], s[16:17], 8
	v_or_b32_e32 v20, v22, v20
	s_delay_alu instid0(VALU_DEP_2)
	v_or_b32_e32 v21, v23, v21
	s_cbranch_scc1 .LBB6_74
.LBB6_75:                               ;   in Loop: Header=BB6_36 Depth=1
	s_wait_xcnt 0x0
	s_mov_b64 s[16:17], s[18:19]
	s_mov_b32 s24, 0
	s_cbranch_execz .LBB6_77
	s_branch .LBB6_78
.LBB6_76:                               ;   in Loop: Header=BB6_36 Depth=1
	s_wait_xcnt 0x0
	s_add_nc_u64 s[16:17], s[18:19], 8
                                        ; implicit-def: $vgpr20_vgpr21
	s_mov_b32 s24, 0
.LBB6_77:                               ;   in Loop: Header=BB6_36 Depth=1
	global_load_b64 v[20:21], v9, s[18:19]
	s_add_co_i32 s24, s3, -8
.LBB6_78:                               ;   in Loop: Header=BB6_36 Depth=1
	s_delay_alu instid0(SALU_CYCLE_1)
	s_cmp_gt_u32 s24, 7
	s_cbranch_scc1 .LBB6_83
; %bb.79:                               ;   in Loop: Header=BB6_36 Depth=1
	v_mov_b64_e32 v[22:23], 0
	s_cmp_eq_u32 s24, 0
	s_cbranch_scc1 .LBB6_82
; %bb.80:                               ;   in Loop: Header=BB6_36 Depth=1
	s_wait_xcnt 0x0
	s_mov_b64 s[18:19], 0
	s_mov_b64 s[20:21], s[16:17]
.LBB6_81:                               ;   Parent Loop BB6_36 Depth=1
                                        ; =>  This Inner Loop Header: Depth=2
	global_load_u8 v1, v9, s[20:21]
	s_add_co_i32 s24, s24, -1
	s_wait_xcnt 0x0
	s_add_nc_u64 s[20:21], s[20:21], 1
	s_cmp_lg_u32 s24, 0
	s_wait_loadcnt 0x0
	v_and_b32_e32 v8, 0xffff, v1
	s_delay_alu instid0(VALU_DEP_1) | instskip(SKIP_1) | instid1(VALU_DEP_1)
	v_lshlrev_b64_e32 v[24:25], s18, v[8:9]
	s_add_nc_u64 s[18:19], s[18:19], 8
	v_or_b32_e32 v22, v24, v22
	s_delay_alu instid0(VALU_DEP_2)
	v_or_b32_e32 v23, v25, v23
	s_cbranch_scc1 .LBB6_81
.LBB6_82:                               ;   in Loop: Header=BB6_36 Depth=1
	s_cbranch_execz .LBB6_84
	s_branch .LBB6_85
.LBB6_83:                               ;   in Loop: Header=BB6_36 Depth=1
.LBB6_84:                               ;   in Loop: Header=BB6_36 Depth=1
	global_load_b64 v[22:23], v9, s[16:17]
.LBB6_85:                               ;   in Loop: Header=BB6_36 Depth=1
	v_readfirstlane_b32 s3, v29
	v_mov_b64_e32 v[32:33], 0
	s_delay_alu instid0(VALU_DEP_2)
	v_cmp_eq_u32_e64 s3, s3, v29
	s_wait_xcnt 0x0
	s_and_saveexec_b32 s16, s3
	s_cbranch_execz .LBB6_91
; %bb.86:                               ;   in Loop: Header=BB6_36 Depth=1
	global_load_b64 v[26:27], v9, s[8:9] offset:24 scope:SCOPE_SYS
	s_wait_loadcnt 0x0
	global_inv scope:SCOPE_SYS
	s_clause 0x1
	global_load_b64 v[24:25], v9, s[8:9] offset:40
	global_load_b64 v[32:33], v9, s[8:9]
	s_mov_b32 s17, exec_lo
	s_wait_loadcnt 0x1
	v_and_b32_e32 v24, v24, v26
	v_and_b32_e32 v25, v25, v27
	s_delay_alu instid0(VALU_DEP_1) | instskip(SKIP_1) | instid1(VALU_DEP_1)
	v_mul_u64_e32 v[24:25], 24, v[24:25]
	s_wait_loadcnt 0x0
	v_add_nc_u64_e32 v[24:25], v[32:33], v[24:25]
	global_load_b64 v[24:25], v[24:25], off scope:SCOPE_SYS
	s_wait_xcnt 0x0
	s_wait_loadcnt 0x0
	global_atomic_cmpswap_b64 v[32:33], v9, v[24:27], s[8:9] offset:24 th:TH_ATOMIC_RETURN scope:SCOPE_SYS
	s_wait_loadcnt 0x0
	global_inv scope:SCOPE_SYS
	s_wait_xcnt 0x0
	v_cmpx_ne_u64_e64 v[32:33], v[26:27]
	s_cbranch_execz .LBB6_90
; %bb.87:                               ;   in Loop: Header=BB6_36 Depth=1
	s_mov_b32 s18, 0
.LBB6_88:                               ;   Parent Loop BB6_36 Depth=1
                                        ; =>  This Inner Loop Header: Depth=2
	s_sleep 1
	s_clause 0x1
	global_load_b64 v[24:25], v9, s[8:9] offset:40
	global_load_b64 v[34:35], v9, s[8:9]
	v_mov_b64_e32 v[26:27], v[32:33]
	s_wait_loadcnt 0x1
	s_delay_alu instid0(VALU_DEP_1) | instskip(SKIP_1) | instid1(VALU_DEP_1)
	v_and_b32_e32 v1, v24, v26
	s_wait_loadcnt 0x0
	v_mad_nc_u64_u32 v[32:33], v1, 24, v[34:35]
	s_delay_alu instid0(VALU_DEP_3) | instskip(NEXT) | instid1(VALU_DEP_1)
	v_and_b32_e32 v1, v25, v27
	v_mad_u32 v33, v1, 24, v33
	global_load_b64 v[24:25], v[32:33], off scope:SCOPE_SYS
	s_wait_xcnt 0x0
	s_wait_loadcnt 0x0
	global_atomic_cmpswap_b64 v[32:33], v9, v[24:27], s[8:9] offset:24 th:TH_ATOMIC_RETURN scope:SCOPE_SYS
	s_wait_loadcnt 0x0
	global_inv scope:SCOPE_SYS
	v_cmp_eq_u64_e32 vcc_lo, v[32:33], v[26:27]
	s_or_b32 s18, vcc_lo, s18
	s_wait_xcnt 0x0
	s_and_not1_b32 exec_lo, exec_lo, s18
	s_cbranch_execnz .LBB6_88
; %bb.89:                               ;   in Loop: Header=BB6_36 Depth=1
	s_or_b32 exec_lo, exec_lo, s18
.LBB6_90:                               ;   in Loop: Header=BB6_36 Depth=1
	s_delay_alu instid0(SALU_CYCLE_1)
	s_or_b32 exec_lo, exec_lo, s17
.LBB6_91:                               ;   in Loop: Header=BB6_36 Depth=1
	s_delay_alu instid0(SALU_CYCLE_1)
	s_or_b32 exec_lo, exec_lo, s16
	s_clause 0x1
	global_load_b64 v[34:35], v9, s[8:9] offset:40
	global_load_b128 v[24:27], v9, s[8:9]
	v_readfirstlane_b32 s16, v32
	v_readfirstlane_b32 s17, v33
	s_mov_b32 s18, exec_lo
	s_wait_loadcnt 0x1
	v_and_b32_e32 v34, s16, v34
	v_and_b32_e32 v35, s17, v35
	s_delay_alu instid0(VALU_DEP_1) | instskip(SKIP_1) | instid1(VALU_DEP_1)
	v_mul_u64_e32 v[32:33], 24, v[34:35]
	s_wait_loadcnt 0x0
	v_add_nc_u64_e32 v[32:33], v[24:25], v[32:33]
	s_wait_xcnt 0x0
	s_and_saveexec_b32 s19, s3
	s_cbranch_execz .LBB6_93
; %bb.92:                               ;   in Loop: Header=BB6_36 Depth=1
	v_mov_b32_e32 v8, s18
	global_store_b128 v[32:33], v[8:11], off offset:8
.LBB6_93:                               ;   in Loop: Header=BB6_36 Depth=1
	s_wait_xcnt 0x0
	s_or_b32 exec_lo, exec_lo, s19
	v_cmp_lt_u64_e64 vcc_lo, s[12:13], 57
	v_lshlrev_b64_e32 v[34:35], 12, v[34:35]
	v_and_b32_e32 v4, 0xffffff1f, v4
	s_lshl_b32 s18, s14, 2
	s_delay_alu instid0(SALU_CYCLE_1) | instskip(SKIP_1) | instid1(VALU_DEP_3)
	s_add_co_i32 s18, s18, 28
	v_cndmask_b32_e32 v1, 0, v30, vcc_lo
	v_add_nc_u64_e32 v[26:27], v[26:27], v[34:35]
	s_delay_alu instid0(VALU_DEP_2) | instskip(NEXT) | instid1(VALU_DEP_2)
	v_or_b32_e32 v1, v4, v1
	v_readfirstlane_b32 s19, v27
	s_delay_alu instid0(VALU_DEP_2) | instskip(NEXT) | instid1(VALU_DEP_4)
	v_and_or_b32 v4, 0x1e0, s18, v1
	v_readfirstlane_b32 s18, v26
	s_clause 0x3
	global_store_b128 v0, v[4:7], s[18:19]
	global_store_b128 v0, v[12:15], s[18:19] offset:16
	global_store_b128 v0, v[16:19], s[18:19] offset:32
	global_store_b128 v0, v[20:23], s[18:19] offset:48
	s_wait_xcnt 0x0
	s_and_saveexec_b32 s18, s3
	s_cbranch_execz .LBB6_101
; %bb.94:                               ;   in Loop: Header=BB6_36 Depth=1
	s_clause 0x1
	global_load_b64 v[16:17], v9, s[8:9] offset:32 scope:SCOPE_SYS
	global_load_b64 v[4:5], v9, s[8:9] offset:40
	s_mov_b32 s19, exec_lo
	v_dual_mov_b32 v14, s16 :: v_dual_mov_b32 v15, s17
	s_wait_loadcnt 0x0
	v_and_b32_e32 v5, s17, v5
	v_and_b32_e32 v4, s16, v4
	s_delay_alu instid0(VALU_DEP_1) | instskip(NEXT) | instid1(VALU_DEP_1)
	v_mul_u64_e32 v[4:5], 24, v[4:5]
	v_add_nc_u64_e32 v[12:13], v[24:25], v[4:5]
	global_store_b64 v[12:13], v[16:17], off
	global_wb scope:SCOPE_SYS
	s_wait_storecnt 0x0
	s_wait_xcnt 0x0
	global_atomic_cmpswap_b64 v[6:7], v9, v[14:17], s[8:9] offset:32 th:TH_ATOMIC_RETURN scope:SCOPE_SYS
	s_wait_loadcnt 0x0
	v_cmpx_ne_u64_e64 v[6:7], v[16:17]
	s_cbranch_execz .LBB6_97
; %bb.95:                               ;   in Loop: Header=BB6_36 Depth=1
	s_mov_b32 s20, 0
.LBB6_96:                               ;   Parent Loop BB6_36 Depth=1
                                        ; =>  This Inner Loop Header: Depth=2
	v_dual_mov_b32 v4, s16 :: v_dual_mov_b32 v5, s17
	s_sleep 1
	global_store_b64 v[12:13], v[6:7], off
	global_wb scope:SCOPE_SYS
	s_wait_storecnt 0x0
	s_wait_xcnt 0x0
	global_atomic_cmpswap_b64 v[4:5], v9, v[4:7], s[8:9] offset:32 th:TH_ATOMIC_RETURN scope:SCOPE_SYS
	s_wait_loadcnt 0x0
	v_cmp_eq_u64_e32 vcc_lo, v[4:5], v[6:7]
	v_mov_b64_e32 v[6:7], v[4:5]
	s_or_b32 s20, vcc_lo, s20
	s_delay_alu instid0(SALU_CYCLE_1)
	s_and_not1_b32 exec_lo, exec_lo, s20
	s_cbranch_execnz .LBB6_96
.LBB6_97:                               ;   in Loop: Header=BB6_36 Depth=1
	s_or_b32 exec_lo, exec_lo, s19
	global_load_b64 v[4:5], v9, s[8:9] offset:16
	s_mov_b32 s20, exec_lo
	s_mov_b32 s19, exec_lo
	v_mbcnt_lo_u32_b32 v1, s20, 0
	s_wait_xcnt 0x0
	s_delay_alu instid0(VALU_DEP_1)
	v_cmpx_eq_u32_e32 0, v1
	s_cbranch_execz .LBB6_99
; %bb.98:                               ;   in Loop: Header=BB6_36 Depth=1
	s_bcnt1_i32_b32 s20, s20
	s_delay_alu instid0(SALU_CYCLE_1)
	v_mov_b32_e32 v8, s20
	global_wb scope:SCOPE_SYS
	s_wait_loadcnt 0x0
	s_wait_storecnt 0x0
	global_atomic_add_u64 v[4:5], v[8:9], off offset:8 scope:SCOPE_SYS
.LBB6_99:                               ;   in Loop: Header=BB6_36 Depth=1
	s_wait_xcnt 0x0
	s_or_b32 exec_lo, exec_lo, s19
	s_wait_loadcnt 0x0
	global_load_b64 v[6:7], v[4:5], off offset:16
	s_wait_loadcnt 0x0
	v_cmp_eq_u64_e32 vcc_lo, 0, v[6:7]
	s_cbranch_vccnz .LBB6_101
; %bb.100:                              ;   in Loop: Header=BB6_36 Depth=1
	global_load_b32 v8, v[4:5], off offset:24
	s_wait_loadcnt 0x0
	v_readfirstlane_b32 s19, v8
	global_wb scope:SCOPE_SYS
	s_wait_storecnt 0x0
	s_wait_xcnt 0x0
	global_store_b64 v[6:7], v[8:9], off scope:SCOPE_SYS
	s_and_b32 m0, s19, 0xffffff
	s_sendmsg sendmsg(MSG_INTERRUPT)
.LBB6_101:                              ;   in Loop: Header=BB6_36 Depth=1
	s_wait_xcnt 0x0
	s_or_b32 exec_lo, exec_lo, s18
	v_mov_b32_e32 v1, v9
	s_delay_alu instid0(VALU_DEP_1)
	v_add_nc_u64_e32 v[4:5], v[26:27], v[0:1]
	s_branch .LBB6_105
.LBB6_102:                              ;   in Loop: Header=BB6_105 Depth=2
	s_wait_xcnt 0x0
	s_or_b32 exec_lo, exec_lo, s18
	s_delay_alu instid0(VALU_DEP_1)
	v_readfirstlane_b32 s18, v1
	s_cmp_eq_u32 s18, 0
	s_cbranch_scc1 .LBB6_104
; %bb.103:                              ;   in Loop: Header=BB6_105 Depth=2
	s_sleep 1
	s_cbranch_execnz .LBB6_105
	s_branch .LBB6_107
.LBB6_104:                              ;   in Loop: Header=BB6_36 Depth=1
	s_branch .LBB6_107
.LBB6_105:                              ;   Parent Loop BB6_36 Depth=1
                                        ; =>  This Inner Loop Header: Depth=2
	v_mov_b32_e32 v1, 1
	s_and_saveexec_b32 s18, s3
	s_cbranch_execz .LBB6_102
; %bb.106:                              ;   in Loop: Header=BB6_105 Depth=2
	global_load_b32 v1, v[32:33], off offset:20 scope:SCOPE_SYS
	s_wait_loadcnt 0x0
	global_inv scope:SCOPE_SYS
	v_and_b32_e32 v1, 1, v1
	s_branch .LBB6_102
.LBB6_107:                              ;   in Loop: Header=BB6_36 Depth=1
	global_load_b64 v[4:5], v[4:5], off
	s_wait_xcnt 0x0
	s_and_saveexec_b32 s18, s3
	s_cbranch_execz .LBB6_35
; %bb.108:                              ;   in Loop: Header=BB6_36 Depth=1
	s_clause 0x2
	global_load_b64 v[6:7], v9, s[8:9] offset:40
	global_load_b64 v[16:17], v9, s[8:9] offset:24 scope:SCOPE_SYS
	global_load_b64 v[12:13], v9, s[8:9]
	s_wait_loadcnt 0x2
	v_readfirstlane_b32 s20, v6
	v_readfirstlane_b32 s21, v7
	s_add_nc_u64 s[24:25], s[20:21], 1
	s_delay_alu instid0(SALU_CYCLE_1) | instskip(NEXT) | instid1(SALU_CYCLE_1)
	s_add_nc_u64 s[16:17], s[24:25], s[16:17]
	s_cmp_eq_u64 s[16:17], 0
	s_cselect_b32 s17, s25, s17
	s_cselect_b32 s16, s24, s16
	s_delay_alu instid0(SALU_CYCLE_1) | instskip(SKIP_1) | instid1(SALU_CYCLE_1)
	v_dual_mov_b32 v15, s17 :: v_dual_mov_b32 v14, s16
	s_and_b64 s[20:21], s[16:17], s[20:21]
	s_mul_u64 s[20:21], s[20:21], 24
	s_wait_loadcnt 0x0
	v_add_nc_u64_e32 v[6:7], s[20:21], v[12:13]
	global_store_b64 v[6:7], v[16:17], off
	global_wb scope:SCOPE_SYS
	s_wait_storecnt 0x0
	s_wait_xcnt 0x0
	global_atomic_cmpswap_b64 v[14:15], v9, v[14:17], s[8:9] offset:24 th:TH_ATOMIC_RETURN scope:SCOPE_SYS
	s_wait_loadcnt 0x0
	v_cmp_ne_u64_e32 vcc_lo, v[14:15], v[16:17]
	s_and_b32 exec_lo, exec_lo, vcc_lo
	s_cbranch_execz .LBB6_35
; %bb.109:                              ;   in Loop: Header=BB6_36 Depth=1
	s_mov_b32 s3, 0
.LBB6_110:                              ;   Parent Loop BB6_36 Depth=1
                                        ; =>  This Inner Loop Header: Depth=2
	v_dual_mov_b32 v12, s16 :: v_dual_mov_b32 v13, s17
	s_sleep 1
	global_store_b64 v[6:7], v[14:15], off
	global_wb scope:SCOPE_SYS
	s_wait_storecnt 0x0
	s_wait_xcnt 0x0
	global_atomic_cmpswap_b64 v[12:13], v9, v[12:15], s[8:9] offset:24 th:TH_ATOMIC_RETURN scope:SCOPE_SYS
	s_wait_loadcnt 0x0
	v_cmp_eq_u64_e32 vcc_lo, v[12:13], v[14:15]
	v_mov_b64_e32 v[14:15], v[12:13]
	s_or_b32 s3, vcc_lo, s3
	s_delay_alu instid0(SALU_CYCLE_1)
	s_and_not1_b32 exec_lo, exec_lo, s3
	s_cbranch_execnz .LBB6_110
	s_branch .LBB6_35
.LBB6_111:
	s_branch .LBB6_140
.LBB6_112:
                                        ; implicit-def: $vgpr4_vgpr5
	s_cbranch_execz .LBB6_140
; %bb.113:
	v_readfirstlane_b32 s3, v29
	s_wait_loadcnt 0x0
	v_mov_b64_e32 v[4:5], 0
	s_delay_alu instid0(VALU_DEP_2)
	v_cmp_eq_u32_e64 s3, s3, v29
	s_and_saveexec_b32 s10, s3
	s_cbranch_execz .LBB6_119
; %bb.114:
	v_mov_b32_e32 v1, 0
	s_mov_b32 s11, exec_lo
	global_load_b64 v[6:7], v1, s[8:9] offset:24 scope:SCOPE_SYS
	s_wait_loadcnt 0x0
	global_inv scope:SCOPE_SYS
	s_clause 0x1
	global_load_b64 v[4:5], v1, s[8:9] offset:40
	global_load_b64 v[8:9], v1, s[8:9]
	s_wait_loadcnt 0x1
	v_and_b32_e32 v4, v4, v6
	v_and_b32_e32 v5, v5, v7
	s_delay_alu instid0(VALU_DEP_1) | instskip(SKIP_1) | instid1(VALU_DEP_1)
	v_mul_u64_e32 v[4:5], 24, v[4:5]
	s_wait_loadcnt 0x0
	v_add_nc_u64_e32 v[4:5], v[8:9], v[4:5]
	global_load_b64 v[4:5], v[4:5], off scope:SCOPE_SYS
	s_wait_xcnt 0x0
	s_wait_loadcnt 0x0
	global_atomic_cmpswap_b64 v[4:5], v1, v[4:7], s[8:9] offset:24 th:TH_ATOMIC_RETURN scope:SCOPE_SYS
	s_wait_loadcnt 0x0
	global_inv scope:SCOPE_SYS
	s_wait_xcnt 0x0
	v_cmpx_ne_u64_e64 v[4:5], v[6:7]
	s_cbranch_execz .LBB6_118
; %bb.115:
	s_mov_b32 s12, 0
.LBB6_116:                              ; =>This Inner Loop Header: Depth=1
	s_sleep 1
	s_clause 0x1
	global_load_b64 v[8:9], v1, s[8:9] offset:40
	global_load_b64 v[10:11], v1, s[8:9]
	v_mov_b64_e32 v[6:7], v[4:5]
	s_wait_loadcnt 0x1
	s_delay_alu instid0(VALU_DEP_1) | instskip(NEXT) | instid1(VALU_DEP_2)
	v_and_b32_e32 v4, v8, v6
	v_and_b32_e32 v8, v9, v7
	s_wait_loadcnt 0x0
	s_delay_alu instid0(VALU_DEP_2) | instskip(NEXT) | instid1(VALU_DEP_1)
	v_mad_nc_u64_u32 v[4:5], v4, 24, v[10:11]
	v_mad_u32 v5, v8, 24, v5
	global_load_b64 v[4:5], v[4:5], off scope:SCOPE_SYS
	s_wait_xcnt 0x0
	s_wait_loadcnt 0x0
	global_atomic_cmpswap_b64 v[4:5], v1, v[4:7], s[8:9] offset:24 th:TH_ATOMIC_RETURN scope:SCOPE_SYS
	s_wait_loadcnt 0x0
	global_inv scope:SCOPE_SYS
	v_cmp_eq_u64_e32 vcc_lo, v[4:5], v[6:7]
	s_or_b32 s12, vcc_lo, s12
	s_wait_xcnt 0x0
	s_and_not1_b32 exec_lo, exec_lo, s12
	s_cbranch_execnz .LBB6_116
; %bb.117:
	s_or_b32 exec_lo, exec_lo, s12
.LBB6_118:
	s_delay_alu instid0(SALU_CYCLE_1)
	s_or_b32 exec_lo, exec_lo, s11
.LBB6_119:
	s_delay_alu instid0(SALU_CYCLE_1)
	s_or_b32 exec_lo, exec_lo, s10
	v_readfirstlane_b32 s10, v4
	v_mov_b32_e32 v1, 0
	v_readfirstlane_b32 s11, v5
	s_mov_b32 s12, exec_lo
	s_clause 0x1
	global_load_b64 v[10:11], v1, s[8:9] offset:40
	global_load_b128 v[6:9], v1, s[8:9]
	s_wait_loadcnt 0x1
	v_and_b32_e32 v4, s10, v10
	v_and_b32_e32 v5, s11, v11
	s_delay_alu instid0(VALU_DEP_1) | instskip(SKIP_1) | instid1(VALU_DEP_1)
	v_mul_u64_e32 v[10:11], 24, v[4:5]
	s_wait_loadcnt 0x0
	v_add_nc_u64_e32 v[10:11], v[6:7], v[10:11]
	s_wait_xcnt 0x0
	s_and_saveexec_b32 s13, s3
	s_cbranch_execz .LBB6_121
; %bb.120:
	v_mov_b64_e32 v[14:15], 0x100000002
	v_dual_mov_b32 v12, s12 :: v_dual_mov_b32 v13, v1
	global_store_b128 v[10:11], v[12:15], off offset:8
.LBB6_121:
	s_wait_xcnt 0x0
	s_or_b32 exec_lo, exec_lo, s13
	v_lshlrev_b64_e32 v[4:5], 12, v[4:5]
	s_mov_b32 s12, 0
	v_and_or_b32 v2, 0xffffff1f, v2, 32
	s_mov_b32 s13, s12
	s_mov_b32 s14, s12
	;; [unrolled: 1-line block ×3, first 2 shown]
	v_mov_b64_e32 v[12:13], s[12:13]
	v_add_nc_u64_e32 v[8:9], v[8:9], v[4:5]
	v_mov_b64_e32 v[14:15], s[14:15]
	v_dual_mov_b32 v4, v1 :: v_dual_mov_b32 v5, v1
	s_delay_alu instid0(VALU_DEP_3) | instskip(NEXT) | instid1(VALU_DEP_4)
	v_readfirstlane_b32 s16, v8
	v_readfirstlane_b32 s17, v9
	s_clause 0x3
	global_store_b128 v0, v[2:5], s[16:17]
	global_store_b128 v0, v[12:15], s[16:17] offset:16
	global_store_b128 v0, v[12:15], s[16:17] offset:32
	;; [unrolled: 1-line block ×3, first 2 shown]
	s_wait_xcnt 0x0
	s_and_saveexec_b32 s12, s3
	s_cbranch_execz .LBB6_129
; %bb.122:
	v_dual_mov_b32 v12, 0 :: v_dual_mov_b32 v15, s11
	s_mov_b32 s13, exec_lo
	s_clause 0x1
	global_load_b64 v[16:17], v12, s[8:9] offset:32 scope:SCOPE_SYS
	global_load_b64 v[2:3], v12, s[8:9] offset:40
	s_wait_loadcnt 0x0
	v_dual_mov_b32 v14, s10 :: v_dual_bitop2_b32 v3, s11, v3 bitop3:0x40
	v_and_b32_e32 v2, s10, v2
	s_delay_alu instid0(VALU_DEP_1) | instskip(NEXT) | instid1(VALU_DEP_1)
	v_mul_u64_e32 v[2:3], 24, v[2:3]
	v_add_nc_u64_e32 v[6:7], v[6:7], v[2:3]
	global_store_b64 v[6:7], v[16:17], off
	global_wb scope:SCOPE_SYS
	s_wait_storecnt 0x0
	s_wait_xcnt 0x0
	global_atomic_cmpswap_b64 v[4:5], v12, v[14:17], s[8:9] offset:32 th:TH_ATOMIC_RETURN scope:SCOPE_SYS
	s_wait_loadcnt 0x0
	v_cmpx_ne_u64_e64 v[4:5], v[16:17]
	s_cbranch_execz .LBB6_125
; %bb.123:
	s_mov_b32 s14, 0
.LBB6_124:                              ; =>This Inner Loop Header: Depth=1
	v_dual_mov_b32 v2, s10 :: v_dual_mov_b32 v3, s11
	s_sleep 1
	global_store_b64 v[6:7], v[4:5], off
	global_wb scope:SCOPE_SYS
	s_wait_storecnt 0x0
	s_wait_xcnt 0x0
	global_atomic_cmpswap_b64 v[2:3], v12, v[2:5], s[8:9] offset:32 th:TH_ATOMIC_RETURN scope:SCOPE_SYS
	s_wait_loadcnt 0x0
	v_cmp_eq_u64_e32 vcc_lo, v[2:3], v[4:5]
	v_mov_b64_e32 v[4:5], v[2:3]
	s_or_b32 s14, vcc_lo, s14
	s_delay_alu instid0(SALU_CYCLE_1)
	s_and_not1_b32 exec_lo, exec_lo, s14
	s_cbranch_execnz .LBB6_124
.LBB6_125:
	s_or_b32 exec_lo, exec_lo, s13
	v_mov_b32_e32 v5, 0
	s_mov_b32 s14, exec_lo
	s_mov_b32 s13, exec_lo
	v_mbcnt_lo_u32_b32 v4, s14, 0
	global_load_b64 v[2:3], v5, s[8:9] offset:16
	s_wait_xcnt 0x0
	v_cmpx_eq_u32_e32 0, v4
	s_cbranch_execz .LBB6_127
; %bb.126:
	s_bcnt1_i32_b32 s14, s14
	s_delay_alu instid0(SALU_CYCLE_1)
	v_mov_b32_e32 v4, s14
	global_wb scope:SCOPE_SYS
	s_wait_loadcnt 0x0
	s_wait_storecnt 0x0
	global_atomic_add_u64 v[2:3], v[4:5], off offset:8 scope:SCOPE_SYS
.LBB6_127:
	s_wait_xcnt 0x0
	s_or_b32 exec_lo, exec_lo, s13
	s_wait_loadcnt 0x0
	global_load_b64 v[4:5], v[2:3], off offset:16
	s_wait_loadcnt 0x0
	v_cmp_eq_u64_e32 vcc_lo, 0, v[4:5]
	s_cbranch_vccnz .LBB6_129
; %bb.128:
	global_load_b32 v2, v[2:3], off offset:24
	s_wait_xcnt 0x0
	v_mov_b32_e32 v3, 0
	s_wait_loadcnt 0x0
	v_readfirstlane_b32 s13, v2
	global_wb scope:SCOPE_SYS
	s_wait_storecnt 0x0
	global_store_b64 v[4:5], v[2:3], off scope:SCOPE_SYS
	s_and_b32 m0, s13, 0xffffff
	s_sendmsg sendmsg(MSG_INTERRUPT)
.LBB6_129:
	s_wait_xcnt 0x0
	s_or_b32 exec_lo, exec_lo, s12
	v_add_nc_u64_e32 v[2:3], v[8:9], v[0:1]
	s_branch .LBB6_133
.LBB6_130:                              ;   in Loop: Header=BB6_133 Depth=1
	s_wait_xcnt 0x0
	s_or_b32 exec_lo, exec_lo, s12
	s_delay_alu instid0(VALU_DEP_1)
	v_readfirstlane_b32 s12, v1
	s_cmp_eq_u32 s12, 0
	s_cbranch_scc1 .LBB6_132
; %bb.131:                              ;   in Loop: Header=BB6_133 Depth=1
	s_sleep 1
	s_cbranch_execnz .LBB6_133
	s_branch .LBB6_135
.LBB6_132:
	s_branch .LBB6_135
.LBB6_133:                              ; =>This Inner Loop Header: Depth=1
	v_mov_b32_e32 v1, 1
	s_and_saveexec_b32 s12, s3
	s_cbranch_execz .LBB6_130
; %bb.134:                              ;   in Loop: Header=BB6_133 Depth=1
	global_load_b32 v1, v[10:11], off offset:20 scope:SCOPE_SYS
	s_wait_loadcnt 0x0
	global_inv scope:SCOPE_SYS
	v_and_b32_e32 v1, 1, v1
	s_branch .LBB6_130
.LBB6_135:
	global_load_b64 v[4:5], v[2:3], off
	s_wait_xcnt 0x0
	s_and_saveexec_b32 s12, s3
	s_cbranch_execz .LBB6_139
; %bb.136:
	v_mov_b32_e32 v1, 0
	s_clause 0x2
	global_load_b64 v[2:3], v1, s[8:9] offset:40
	global_load_b64 v[10:11], v1, s[8:9] offset:24 scope:SCOPE_SYS
	global_load_b64 v[6:7], v1, s[8:9]
	s_wait_loadcnt 0x2
	v_readfirstlane_b32 s14, v2
	v_readfirstlane_b32 s15, v3
	s_add_nc_u64 s[16:17], s[14:15], 1
	s_delay_alu instid0(SALU_CYCLE_1) | instskip(NEXT) | instid1(SALU_CYCLE_1)
	s_add_nc_u64 s[10:11], s[16:17], s[10:11]
	s_cmp_eq_u64 s[10:11], 0
	s_cselect_b32 s11, s17, s11
	s_cselect_b32 s10, s16, s10
	v_mov_b32_e32 v9, s11
	s_and_b64 s[14:15], s[10:11], s[14:15]
	v_mov_b32_e32 v8, s10
	s_mul_u64 s[14:15], s[14:15], 24
	s_wait_loadcnt 0x0
	v_add_nc_u64_e32 v[2:3], s[14:15], v[6:7]
	global_store_b64 v[2:3], v[10:11], off
	global_wb scope:SCOPE_SYS
	s_wait_storecnt 0x0
	s_wait_xcnt 0x0
	global_atomic_cmpswap_b64 v[8:9], v1, v[8:11], s[8:9] offset:24 th:TH_ATOMIC_RETURN scope:SCOPE_SYS
	s_wait_loadcnt 0x0
	v_cmp_ne_u64_e32 vcc_lo, v[8:9], v[10:11]
	s_and_b32 exec_lo, exec_lo, vcc_lo
	s_cbranch_execz .LBB6_139
; %bb.137:
	s_mov_b32 s3, 0
.LBB6_138:                              ; =>This Inner Loop Header: Depth=1
	v_dual_mov_b32 v6, s10 :: v_dual_mov_b32 v7, s11
	s_sleep 1
	global_store_b64 v[2:3], v[8:9], off
	global_wb scope:SCOPE_SYS
	s_wait_storecnt 0x0
	s_wait_xcnt 0x0
	global_atomic_cmpswap_b64 v[6:7], v1, v[6:9], s[8:9] offset:24 th:TH_ATOMIC_RETURN scope:SCOPE_SYS
	s_wait_loadcnt 0x0
	v_cmp_eq_u64_e32 vcc_lo, v[6:7], v[8:9]
	v_mov_b64_e32 v[8:9], v[6:7]
	s_or_b32 s3, vcc_lo, s3
	s_delay_alu instid0(SALU_CYCLE_1)
	s_and_not1_b32 exec_lo, exec_lo, s3
	s_cbranch_execnz .LBB6_138
.LBB6_139:
	s_or_b32 exec_lo, exec_lo, s12
.LBB6_140:
	v_readfirstlane_b32 s3, v29
	s_wait_loadcnt 0x0
	v_mov_b64_e32 v[2:3], 0
	s_delay_alu instid0(VALU_DEP_2)
	v_cmp_eq_u32_e64 s3, s3, v29
	s_and_saveexec_b32 s10, s3
	s_cbranch_execz .LBB6_146
; %bb.141:
	v_mov_b32_e32 v1, 0
	s_mov_b32 s11, exec_lo
	global_load_b64 v[8:9], v1, s[8:9] offset:24 scope:SCOPE_SYS
	s_wait_loadcnt 0x0
	global_inv scope:SCOPE_SYS
	s_clause 0x1
	global_load_b64 v[2:3], v1, s[8:9] offset:40
	global_load_b64 v[6:7], v1, s[8:9]
	s_wait_loadcnt 0x1
	v_and_b32_e32 v2, v2, v8
	v_and_b32_e32 v3, v3, v9
	s_delay_alu instid0(VALU_DEP_1) | instskip(SKIP_1) | instid1(VALU_DEP_1)
	v_mul_u64_e32 v[2:3], 24, v[2:3]
	s_wait_loadcnt 0x0
	v_add_nc_u64_e32 v[2:3], v[6:7], v[2:3]
	global_load_b64 v[6:7], v[2:3], off scope:SCOPE_SYS
	s_wait_xcnt 0x0
	s_wait_loadcnt 0x0
	global_atomic_cmpswap_b64 v[2:3], v1, v[6:9], s[8:9] offset:24 th:TH_ATOMIC_RETURN scope:SCOPE_SYS
	s_wait_loadcnt 0x0
	global_inv scope:SCOPE_SYS
	s_wait_xcnt 0x0
	v_cmpx_ne_u64_e64 v[2:3], v[8:9]
	s_cbranch_execz .LBB6_145
; %bb.142:
	s_mov_b32 s12, 0
.LBB6_143:                              ; =>This Inner Loop Header: Depth=1
	s_sleep 1
	s_clause 0x1
	global_load_b64 v[6:7], v1, s[8:9] offset:40
	global_load_b64 v[10:11], v1, s[8:9]
	v_mov_b64_e32 v[8:9], v[2:3]
	s_wait_loadcnt 0x1
	s_delay_alu instid0(VALU_DEP_1) | instskip(NEXT) | instid1(VALU_DEP_2)
	v_and_b32_e32 v2, v6, v8
	v_and_b32_e32 v6, v7, v9
	s_wait_loadcnt 0x0
	s_delay_alu instid0(VALU_DEP_2) | instskip(NEXT) | instid1(VALU_DEP_1)
	v_mad_nc_u64_u32 v[2:3], v2, 24, v[10:11]
	v_mad_u32 v3, v6, 24, v3
	global_load_b64 v[6:7], v[2:3], off scope:SCOPE_SYS
	s_wait_xcnt 0x0
	s_wait_loadcnt 0x0
	global_atomic_cmpswap_b64 v[2:3], v1, v[6:9], s[8:9] offset:24 th:TH_ATOMIC_RETURN scope:SCOPE_SYS
	s_wait_loadcnt 0x0
	global_inv scope:SCOPE_SYS
	v_cmp_eq_u64_e32 vcc_lo, v[2:3], v[8:9]
	s_or_b32 s12, vcc_lo, s12
	s_wait_xcnt 0x0
	s_and_not1_b32 exec_lo, exec_lo, s12
	s_cbranch_execnz .LBB6_143
; %bb.144:
	s_or_b32 exec_lo, exec_lo, s12
.LBB6_145:
	s_delay_alu instid0(SALU_CYCLE_1)
	s_or_b32 exec_lo, exec_lo, s11
.LBB6_146:
	s_delay_alu instid0(SALU_CYCLE_1)
	s_or_b32 exec_lo, exec_lo, s10
	v_readfirstlane_b32 s10, v2
	v_mov_b32_e32 v1, 0
	v_readfirstlane_b32 s11, v3
	s_mov_b32 s12, exec_lo
	s_clause 0x1
	global_load_b64 v[6:7], v1, s[8:9] offset:40
	global_load_b128 v[8:11], v1, s[8:9]
	s_wait_loadcnt 0x1
	v_and_b32_e32 v2, s10, v6
	v_and_b32_e32 v3, s11, v7
	s_delay_alu instid0(VALU_DEP_1) | instskip(SKIP_1) | instid1(VALU_DEP_1)
	v_mul_u64_e32 v[6:7], 24, v[2:3]
	s_wait_loadcnt 0x0
	v_add_nc_u64_e32 v[12:13], v[8:9], v[6:7]
	s_wait_xcnt 0x0
	s_and_saveexec_b32 s13, s3
	s_cbranch_execz .LBB6_148
; %bb.147:
	v_mov_b64_e32 v[16:17], 0x100000002
	v_dual_mov_b32 v14, s12 :: v_dual_mov_b32 v15, v1
	global_store_b128 v[12:13], v[14:17], off offset:8
.LBB6_148:
	s_wait_xcnt 0x0
	s_or_b32 exec_lo, exec_lo, s13
	v_lshlrev_b64_e32 v[2:3], 12, v[2:3]
	s_mov_b32 s16, 0
	s_add_co_i32 s12, s22, -1
	s_mov_b32 s17, s16
	s_mov_b32 s18, s16
	s_mov_b32 s19, s16
	v_mov_b64_e32 v[14:15], s[16:17]
	v_add_nc_u64_e32 v[10:11], v[10:11], v[2:3]
	v_mov_b64_e32 v[16:17], s[18:19]
	v_and_or_b32 v4, 0xffffff1f, v4, 32
	v_dual_mov_b32 v7, v1 :: v_dual_mov_b32 v6, s12
	s_delay_alu instid0(VALU_DEP_4)
	v_readfirstlane_b32 s14, v10
	v_readfirstlane_b32 s15, v11
	s_clause 0x3
	global_store_b128 v0, v[4:7], s[14:15]
	global_store_b128 v0, v[14:17], s[14:15] offset:16
	global_store_b128 v0, v[14:17], s[14:15] offset:32
	;; [unrolled: 1-line block ×3, first 2 shown]
	s_wait_xcnt 0x0
	s_and_saveexec_b32 s13, s3
	s_cbranch_execz .LBB6_156
; %bb.149:
	v_dual_mov_b32 v14, 0 :: v_dual_mov_b32 v17, s11
	s_mov_b32 s14, exec_lo
	s_clause 0x1
	global_load_b64 v[18:19], v14, s[8:9] offset:32 scope:SCOPE_SYS
	global_load_b64 v[2:3], v14, s[8:9] offset:40
	s_wait_loadcnt 0x0
	v_dual_mov_b32 v16, s10 :: v_dual_bitop2_b32 v3, s11, v3 bitop3:0x40
	v_and_b32_e32 v2, s10, v2
	s_delay_alu instid0(VALU_DEP_1) | instskip(NEXT) | instid1(VALU_DEP_1)
	v_mul_u64_e32 v[2:3], 24, v[2:3]
	v_add_nc_u64_e32 v[6:7], v[8:9], v[2:3]
	global_store_b64 v[6:7], v[18:19], off
	global_wb scope:SCOPE_SYS
	s_wait_storecnt 0x0
	s_wait_xcnt 0x0
	global_atomic_cmpswap_b64 v[4:5], v14, v[16:19], s[8:9] offset:32 th:TH_ATOMIC_RETURN scope:SCOPE_SYS
	s_wait_loadcnt 0x0
	v_cmpx_ne_u64_e64 v[4:5], v[18:19]
	s_cbranch_execz .LBB6_152
; %bb.150:
	s_mov_b32 s15, 0
.LBB6_151:                              ; =>This Inner Loop Header: Depth=1
	v_dual_mov_b32 v2, s10 :: v_dual_mov_b32 v3, s11
	s_sleep 1
	global_store_b64 v[6:7], v[4:5], off
	global_wb scope:SCOPE_SYS
	s_wait_storecnt 0x0
	s_wait_xcnt 0x0
	global_atomic_cmpswap_b64 v[2:3], v14, v[2:5], s[8:9] offset:32 th:TH_ATOMIC_RETURN scope:SCOPE_SYS
	s_wait_loadcnt 0x0
	v_cmp_eq_u64_e32 vcc_lo, v[2:3], v[4:5]
	v_mov_b64_e32 v[4:5], v[2:3]
	s_or_b32 s15, vcc_lo, s15
	s_delay_alu instid0(SALU_CYCLE_1)
	s_and_not1_b32 exec_lo, exec_lo, s15
	s_cbranch_execnz .LBB6_151
.LBB6_152:
	s_or_b32 exec_lo, exec_lo, s14
	v_mov_b32_e32 v5, 0
	s_mov_b32 s15, exec_lo
	s_mov_b32 s14, exec_lo
	v_mbcnt_lo_u32_b32 v4, s15, 0
	global_load_b64 v[2:3], v5, s[8:9] offset:16
	s_wait_xcnt 0x0
	v_cmpx_eq_u32_e32 0, v4
	s_cbranch_execz .LBB6_154
; %bb.153:
	s_bcnt1_i32_b32 s15, s15
	s_delay_alu instid0(SALU_CYCLE_1)
	v_mov_b32_e32 v4, s15
	global_wb scope:SCOPE_SYS
	s_wait_loadcnt 0x0
	s_wait_storecnt 0x0
	global_atomic_add_u64 v[2:3], v[4:5], off offset:8 scope:SCOPE_SYS
.LBB6_154:
	s_wait_xcnt 0x0
	s_or_b32 exec_lo, exec_lo, s14
	s_wait_loadcnt 0x0
	global_load_b64 v[4:5], v[2:3], off offset:16
	s_wait_loadcnt 0x0
	v_cmp_eq_u64_e32 vcc_lo, 0, v[4:5]
	s_cbranch_vccnz .LBB6_156
; %bb.155:
	global_load_b32 v2, v[2:3], off offset:24
	s_wait_xcnt 0x0
	v_mov_b32_e32 v3, 0
	s_wait_loadcnt 0x0
	v_readfirstlane_b32 s14, v2
	global_wb scope:SCOPE_SYS
	s_wait_storecnt 0x0
	global_store_b64 v[4:5], v[2:3], off scope:SCOPE_SYS
	s_and_b32 m0, s14, 0xffffff
	s_sendmsg sendmsg(MSG_INTERRUPT)
.LBB6_156:
	s_wait_xcnt 0x0
	s_or_b32 exec_lo, exec_lo, s13
	v_add_nc_u64_e32 v[2:3], v[10:11], v[0:1]
	s_branch .LBB6_160
.LBB6_157:                              ;   in Loop: Header=BB6_160 Depth=1
	s_wait_xcnt 0x0
	s_or_b32 exec_lo, exec_lo, s13
	s_delay_alu instid0(VALU_DEP_1)
	v_readfirstlane_b32 s13, v1
	s_cmp_eq_u32 s13, 0
	s_cbranch_scc1 .LBB6_159
; %bb.158:                              ;   in Loop: Header=BB6_160 Depth=1
	s_sleep 1
	s_cbranch_execnz .LBB6_160
	s_branch .LBB6_162
.LBB6_159:
	s_branch .LBB6_162
.LBB6_160:                              ; =>This Inner Loop Header: Depth=1
	v_mov_b32_e32 v1, 1
	s_and_saveexec_b32 s13, s3
	s_cbranch_execz .LBB6_157
; %bb.161:                              ;   in Loop: Header=BB6_160 Depth=1
	global_load_b32 v1, v[12:13], off offset:20 scope:SCOPE_SYS
	s_wait_loadcnt 0x0
	global_inv scope:SCOPE_SYS
	v_and_b32_e32 v1, 1, v1
	s_branch .LBB6_157
.LBB6_162:
	global_load_b64 v[2:3], v[2:3], off
	s_wait_xcnt 0x0
	s_and_saveexec_b32 s13, s3
	s_cbranch_execz .LBB6_166
; %bb.163:
	v_mov_b32_e32 v1, 0
	s_clause 0x2
	global_load_b64 v[4:5], v1, s[8:9] offset:40
	global_load_b64 v[12:13], v1, s[8:9] offset:24 scope:SCOPE_SYS
	global_load_b64 v[6:7], v1, s[8:9]
	s_wait_loadcnt 0x2
	v_readfirstlane_b32 s14, v4
	v_readfirstlane_b32 s15, v5
	s_add_nc_u64 s[16:17], s[14:15], 1
	s_delay_alu instid0(SALU_CYCLE_1) | instskip(NEXT) | instid1(SALU_CYCLE_1)
	s_add_nc_u64 s[10:11], s[16:17], s[10:11]
	s_cmp_eq_u64 s[10:11], 0
	s_cselect_b32 s11, s17, s11
	s_cselect_b32 s10, s16, s10
	v_mov_b32_e32 v11, s11
	s_and_b64 s[14:15], s[10:11], s[14:15]
	v_mov_b32_e32 v10, s10
	s_mul_u64 s[14:15], s[14:15], 24
	s_wait_loadcnt 0x0
	v_add_nc_u64_e32 v[8:9], s[14:15], v[6:7]
	global_store_b64 v[8:9], v[12:13], off
	global_wb scope:SCOPE_SYS
	s_wait_storecnt 0x0
	s_wait_xcnt 0x0
	global_atomic_cmpswap_b64 v[6:7], v1, v[10:13], s[8:9] offset:24 th:TH_ATOMIC_RETURN scope:SCOPE_SYS
	s_wait_loadcnt 0x0
	v_cmp_ne_u64_e32 vcc_lo, v[6:7], v[12:13]
	s_and_b32 exec_lo, exec_lo, vcc_lo
	s_cbranch_execz .LBB6_166
; %bb.164:
	s_mov_b32 s3, 0
.LBB6_165:                              ; =>This Inner Loop Header: Depth=1
	v_dual_mov_b32 v4, s10 :: v_dual_mov_b32 v5, s11
	s_sleep 1
	global_store_b64 v[8:9], v[6:7], off
	global_wb scope:SCOPE_SYS
	s_wait_storecnt 0x0
	s_wait_xcnt 0x0
	global_atomic_cmpswap_b64 v[4:5], v1, v[4:7], s[8:9] offset:24 th:TH_ATOMIC_RETURN scope:SCOPE_SYS
	s_wait_loadcnt 0x0
	v_cmp_eq_u64_e32 vcc_lo, v[4:5], v[6:7]
	v_mov_b64_e32 v[6:7], v[4:5]
	s_or_b32 s3, vcc_lo, s3
	s_delay_alu instid0(SALU_CYCLE_1)
	s_and_not1_b32 exec_lo, exec_lo, s3
	s_cbranch_execnz .LBB6_165
.LBB6_166:
	s_or_b32 exec_lo, exec_lo, s13
	v_readfirstlane_b32 s3, v29
	v_mov_b64_e32 v[4:5], 0
	s_delay_alu instid0(VALU_DEP_2)
	v_cmp_eq_u32_e64 s3, s3, v29
	s_and_saveexec_b32 s10, s3
	s_cbranch_execz .LBB6_172
; %bb.167:
	v_mov_b32_e32 v1, 0
	s_mov_b32 s11, exec_lo
	global_load_b64 v[6:7], v1, s[8:9] offset:24 scope:SCOPE_SYS
	s_wait_loadcnt 0x0
	global_inv scope:SCOPE_SYS
	s_clause 0x1
	global_load_b64 v[4:5], v1, s[8:9] offset:40
	global_load_b64 v[8:9], v1, s[8:9]
	s_wait_loadcnt 0x1
	v_and_b32_e32 v4, v4, v6
	v_and_b32_e32 v5, v5, v7
	s_delay_alu instid0(VALU_DEP_1) | instskip(SKIP_1) | instid1(VALU_DEP_1)
	v_mul_u64_e32 v[4:5], 24, v[4:5]
	s_wait_loadcnt 0x0
	v_add_nc_u64_e32 v[4:5], v[8:9], v[4:5]
	global_load_b64 v[4:5], v[4:5], off scope:SCOPE_SYS
	s_wait_xcnt 0x0
	s_wait_loadcnt 0x0
	global_atomic_cmpswap_b64 v[4:5], v1, v[4:7], s[8:9] offset:24 th:TH_ATOMIC_RETURN scope:SCOPE_SYS
	s_wait_loadcnt 0x0
	global_inv scope:SCOPE_SYS
	s_wait_xcnt 0x0
	v_cmpx_ne_u64_e64 v[4:5], v[6:7]
	s_cbranch_execz .LBB6_171
; %bb.168:
	s_mov_b32 s13, 0
.LBB6_169:                              ; =>This Inner Loop Header: Depth=1
	s_sleep 1
	s_clause 0x1
	global_load_b64 v[8:9], v1, s[8:9] offset:40
	global_load_b64 v[10:11], v1, s[8:9]
	v_mov_b64_e32 v[6:7], v[4:5]
	s_wait_loadcnt 0x1
	s_delay_alu instid0(VALU_DEP_1) | instskip(NEXT) | instid1(VALU_DEP_2)
	v_and_b32_e32 v4, v8, v6
	v_and_b32_e32 v8, v9, v7
	s_wait_loadcnt 0x0
	s_delay_alu instid0(VALU_DEP_2) | instskip(NEXT) | instid1(VALU_DEP_1)
	v_mad_nc_u64_u32 v[4:5], v4, 24, v[10:11]
	v_mad_u32 v5, v8, 24, v5
	global_load_b64 v[4:5], v[4:5], off scope:SCOPE_SYS
	s_wait_xcnt 0x0
	s_wait_loadcnt 0x0
	global_atomic_cmpswap_b64 v[4:5], v1, v[4:7], s[8:9] offset:24 th:TH_ATOMIC_RETURN scope:SCOPE_SYS
	s_wait_loadcnt 0x0
	global_inv scope:SCOPE_SYS
	v_cmp_eq_u64_e32 vcc_lo, v[4:5], v[6:7]
	s_or_b32 s13, vcc_lo, s13
	s_wait_xcnt 0x0
	s_and_not1_b32 exec_lo, exec_lo, s13
	s_cbranch_execnz .LBB6_169
; %bb.170:
	s_or_b32 exec_lo, exec_lo, s13
.LBB6_171:
	s_delay_alu instid0(SALU_CYCLE_1)
	s_or_b32 exec_lo, exec_lo, s11
.LBB6_172:
	s_delay_alu instid0(SALU_CYCLE_1)
	s_or_b32 exec_lo, exec_lo, s10
	v_readfirstlane_b32 s10, v4
	v_mov_b32_e32 v1, 0
	v_readfirstlane_b32 s11, v5
	s_mov_b32 s13, exec_lo
	s_clause 0x1
	global_load_b64 v[10:11], v1, s[8:9] offset:40
	global_load_b128 v[6:9], v1, s[8:9]
	s_wait_loadcnt 0x1
	v_and_b32_e32 v4, s10, v10
	v_and_b32_e32 v5, s11, v11
	s_delay_alu instid0(VALU_DEP_1) | instskip(SKIP_1) | instid1(VALU_DEP_1)
	v_mul_u64_e32 v[10:11], 24, v[4:5]
	s_wait_loadcnt 0x0
	v_add_nc_u64_e32 v[10:11], v[6:7], v[10:11]
	s_wait_xcnt 0x0
	s_and_saveexec_b32 s14, s3
	s_cbranch_execz .LBB6_174
; %bb.173:
	v_mov_b64_e32 v[14:15], 0x100000002
	v_dual_mov_b32 v12, s13 :: v_dual_mov_b32 v13, v1
	global_store_b128 v[10:11], v[12:15], off offset:8
.LBB6_174:
	s_wait_xcnt 0x0
	s_or_b32 exec_lo, exec_lo, s14
	v_lshlrev_b64_e32 v[12:13], 12, v[4:5]
	s_mov_b32 s16, 0
	v_dual_cndmask_b32 v4, -1, v31, s2 :: v_dual_mov_b32 v5, v1
	s_mov_b32 s17, s16
	s_mov_b32 s18, s16
	;; [unrolled: 1-line block ×3, first 2 shown]
	s_delay_alu instid0(VALU_DEP_2) | instskip(SKIP_3) | instid1(VALU_DEP_4)
	v_add_nc_u64_e32 v[8:9], v[8:9], v[12:13]
	v_mov_b64_e32 v[12:13], s[16:17]
	v_mov_b64_e32 v[14:15], s[18:19]
	v_and_or_b32 v2, 0xffffff1f, v2, 32
	v_readfirstlane_b32 s14, v8
	v_readfirstlane_b32 s15, v9
	s_clause 0x3
	global_store_b128 v0, v[2:5], s[14:15]
	global_store_b128 v0, v[12:15], s[14:15] offset:16
	global_store_b128 v0, v[12:15], s[14:15] offset:32
	;; [unrolled: 1-line block ×3, first 2 shown]
	s_wait_xcnt 0x0
	s_and_saveexec_b32 s2, s3
	s_cbranch_execz .LBB6_182
; %bb.175:
	v_dual_mov_b32 v12, 0 :: v_dual_mov_b32 v15, s11
	s_mov_b32 s13, exec_lo
	s_clause 0x1
	global_load_b64 v[16:17], v12, s[8:9] offset:32 scope:SCOPE_SYS
	global_load_b64 v[2:3], v12, s[8:9] offset:40
	s_wait_loadcnt 0x0
	v_dual_mov_b32 v14, s10 :: v_dual_bitop2_b32 v3, s11, v3 bitop3:0x40
	v_and_b32_e32 v2, s10, v2
	s_delay_alu instid0(VALU_DEP_1) | instskip(NEXT) | instid1(VALU_DEP_1)
	v_mul_u64_e32 v[2:3], 24, v[2:3]
	v_add_nc_u64_e32 v[6:7], v[6:7], v[2:3]
	global_store_b64 v[6:7], v[16:17], off
	global_wb scope:SCOPE_SYS
	s_wait_storecnt 0x0
	s_wait_xcnt 0x0
	global_atomic_cmpswap_b64 v[4:5], v12, v[14:17], s[8:9] offset:32 th:TH_ATOMIC_RETURN scope:SCOPE_SYS
	s_wait_loadcnt 0x0
	v_cmpx_ne_u64_e64 v[4:5], v[16:17]
	s_cbranch_execz .LBB6_178
; %bb.176:
	s_mov_b32 s14, 0
.LBB6_177:                              ; =>This Inner Loop Header: Depth=1
	v_dual_mov_b32 v2, s10 :: v_dual_mov_b32 v3, s11
	s_sleep 1
	global_store_b64 v[6:7], v[4:5], off
	global_wb scope:SCOPE_SYS
	s_wait_storecnt 0x0
	s_wait_xcnt 0x0
	global_atomic_cmpswap_b64 v[2:3], v12, v[2:5], s[8:9] offset:32 th:TH_ATOMIC_RETURN scope:SCOPE_SYS
	s_wait_loadcnt 0x0
	v_cmp_eq_u64_e32 vcc_lo, v[2:3], v[4:5]
	v_mov_b64_e32 v[4:5], v[2:3]
	s_or_b32 s14, vcc_lo, s14
	s_delay_alu instid0(SALU_CYCLE_1)
	s_and_not1_b32 exec_lo, exec_lo, s14
	s_cbranch_execnz .LBB6_177
.LBB6_178:
	s_or_b32 exec_lo, exec_lo, s13
	v_mov_b32_e32 v5, 0
	s_mov_b32 s14, exec_lo
	s_mov_b32 s13, exec_lo
	v_mbcnt_lo_u32_b32 v4, s14, 0
	global_load_b64 v[2:3], v5, s[8:9] offset:16
	s_wait_xcnt 0x0
	v_cmpx_eq_u32_e32 0, v4
	s_cbranch_execz .LBB6_180
; %bb.179:
	s_bcnt1_i32_b32 s14, s14
	s_delay_alu instid0(SALU_CYCLE_1)
	v_mov_b32_e32 v4, s14
	global_wb scope:SCOPE_SYS
	s_wait_loadcnt 0x0
	s_wait_storecnt 0x0
	global_atomic_add_u64 v[2:3], v[4:5], off offset:8 scope:SCOPE_SYS
.LBB6_180:
	s_wait_xcnt 0x0
	s_or_b32 exec_lo, exec_lo, s13
	s_wait_loadcnt 0x0
	global_load_b64 v[4:5], v[2:3], off offset:16
	s_wait_loadcnt 0x0
	v_cmp_eq_u64_e32 vcc_lo, 0, v[4:5]
	s_cbranch_vccnz .LBB6_182
; %bb.181:
	global_load_b32 v2, v[2:3], off offset:24
	s_wait_xcnt 0x0
	v_mov_b32_e32 v3, 0
	s_wait_loadcnt 0x0
	v_readfirstlane_b32 s13, v2
	global_wb scope:SCOPE_SYS
	s_wait_storecnt 0x0
	global_store_b64 v[4:5], v[2:3], off scope:SCOPE_SYS
	s_and_b32 m0, s13, 0xffffff
	s_sendmsg sendmsg(MSG_INTERRUPT)
.LBB6_182:
	s_wait_xcnt 0x0
	s_or_b32 exec_lo, exec_lo, s2
	v_add_nc_u64_e32 v[2:3], v[8:9], v[0:1]
	s_branch .LBB6_186
.LBB6_183:                              ;   in Loop: Header=BB6_186 Depth=1
	s_wait_xcnt 0x0
	s_or_b32 exec_lo, exec_lo, s2
	s_delay_alu instid0(VALU_DEP_1)
	v_readfirstlane_b32 s2, v1
	s_cmp_eq_u32 s2, 0
	s_cbranch_scc1 .LBB6_185
; %bb.184:                              ;   in Loop: Header=BB6_186 Depth=1
	s_sleep 1
	s_cbranch_execnz .LBB6_186
	s_branch .LBB6_188
.LBB6_185:
	s_branch .LBB6_188
.LBB6_186:                              ; =>This Inner Loop Header: Depth=1
	v_mov_b32_e32 v1, 1
	s_and_saveexec_b32 s2, s3
	s_cbranch_execz .LBB6_183
; %bb.187:                              ;   in Loop: Header=BB6_186 Depth=1
	global_load_b32 v1, v[10:11], off offset:20 scope:SCOPE_SYS
	s_wait_loadcnt 0x0
	global_inv scope:SCOPE_SYS
	v_and_b32_e32 v1, 1, v1
	s_branch .LBB6_183
.LBB6_188:
	global_load_b64 v[2:3], v[2:3], off
	s_wait_xcnt 0x0
	s_and_saveexec_b32 s13, s3
	s_cbranch_execz .LBB6_192
; %bb.189:
	v_mov_b32_e32 v1, 0
	s_clause 0x2
	global_load_b64 v[4:5], v1, s[8:9] offset:40
	global_load_b64 v[12:13], v1, s[8:9] offset:24 scope:SCOPE_SYS
	global_load_b64 v[6:7], v1, s[8:9]
	s_wait_loadcnt 0x2
	v_readfirstlane_b32 s14, v4
	v_readfirstlane_b32 s15, v5
	s_add_nc_u64 s[2:3], s[14:15], 1
	s_delay_alu instid0(SALU_CYCLE_1) | instskip(NEXT) | instid1(SALU_CYCLE_1)
	s_add_nc_u64 s[10:11], s[2:3], s[10:11]
	s_cmp_eq_u64 s[10:11], 0
	s_cselect_b32 s3, s3, s11
	s_cselect_b32 s2, s2, s10
	v_mov_b32_e32 v11, s3
	s_and_b64 s[10:11], s[2:3], s[14:15]
	v_mov_b32_e32 v10, s2
	s_mul_u64 s[10:11], s[10:11], 24
	s_wait_loadcnt 0x0
	v_add_nc_u64_e32 v[8:9], s[10:11], v[6:7]
	global_store_b64 v[8:9], v[12:13], off
	global_wb scope:SCOPE_SYS
	s_wait_storecnt 0x0
	s_wait_xcnt 0x0
	global_atomic_cmpswap_b64 v[6:7], v1, v[10:13], s[8:9] offset:24 th:TH_ATOMIC_RETURN scope:SCOPE_SYS
	s_wait_loadcnt 0x0
	v_cmp_ne_u64_e32 vcc_lo, v[6:7], v[12:13]
	s_and_b32 exec_lo, exec_lo, vcc_lo
	s_cbranch_execz .LBB6_192
; %bb.190:
	s_mov_b32 s10, 0
.LBB6_191:                              ; =>This Inner Loop Header: Depth=1
	v_dual_mov_b32 v4, s2 :: v_dual_mov_b32 v5, s3
	s_sleep 1
	global_store_b64 v[8:9], v[6:7], off
	global_wb scope:SCOPE_SYS
	s_wait_storecnt 0x0
	s_wait_xcnt 0x0
	global_atomic_cmpswap_b64 v[4:5], v1, v[4:7], s[8:9] offset:24 th:TH_ATOMIC_RETURN scope:SCOPE_SYS
	s_wait_loadcnt 0x0
	v_cmp_eq_u64_e32 vcc_lo, v[4:5], v[6:7]
	v_mov_b64_e32 v[6:7], v[4:5]
	s_or_b32 s10, vcc_lo, s10
	s_delay_alu instid0(SALU_CYCLE_1)
	s_and_not1_b32 exec_lo, exec_lo, s10
	s_cbranch_execnz .LBB6_191
.LBB6_192:
	s_or_b32 exec_lo, exec_lo, s13
	v_readfirstlane_b32 s2, v29
	v_mov_b64_e32 v[10:11], 0
	s_delay_alu instid0(VALU_DEP_2)
	v_cmp_eq_u32_e64 s2, s2, v29
	s_and_saveexec_b32 s3, s2
	s_cbranch_execz .LBB6_198
; %bb.193:
	v_mov_b32_e32 v1, 0
	s_mov_b32 s10, exec_lo
	global_load_b64 v[6:7], v1, s[8:9] offset:24 scope:SCOPE_SYS
	s_wait_loadcnt 0x0
	global_inv scope:SCOPE_SYS
	s_clause 0x1
	global_load_b64 v[4:5], v1, s[8:9] offset:40
	global_load_b64 v[8:9], v1, s[8:9]
	s_wait_loadcnt 0x1
	v_and_b32_e32 v4, v4, v6
	v_and_b32_e32 v5, v5, v7
	s_delay_alu instid0(VALU_DEP_1) | instskip(SKIP_1) | instid1(VALU_DEP_1)
	v_mul_u64_e32 v[4:5], 24, v[4:5]
	s_wait_loadcnt 0x0
	v_add_nc_u64_e32 v[4:5], v[8:9], v[4:5]
	global_load_b64 v[4:5], v[4:5], off scope:SCOPE_SYS
	s_wait_xcnt 0x0
	s_wait_loadcnt 0x0
	global_atomic_cmpswap_b64 v[10:11], v1, v[4:7], s[8:9] offset:24 th:TH_ATOMIC_RETURN scope:SCOPE_SYS
	s_wait_loadcnt 0x0
	global_inv scope:SCOPE_SYS
	s_wait_xcnt 0x0
	v_cmpx_ne_u64_e64 v[10:11], v[6:7]
	s_cbranch_execz .LBB6_197
; %bb.194:
	s_mov_b32 s11, 0
.LBB6_195:                              ; =>This Inner Loop Header: Depth=1
	s_sleep 1
	s_clause 0x1
	global_load_b64 v[4:5], v1, s[8:9] offset:40
	global_load_b64 v[8:9], v1, s[8:9]
	v_mov_b64_e32 v[6:7], v[10:11]
	s_wait_loadcnt 0x1
	s_delay_alu instid0(VALU_DEP_1) | instskip(SKIP_1) | instid1(VALU_DEP_1)
	v_and_b32_e32 v4, v4, v6
	s_wait_loadcnt 0x0
	v_mad_nc_u64_u32 v[8:9], v4, 24, v[8:9]
	s_delay_alu instid0(VALU_DEP_3) | instskip(NEXT) | instid1(VALU_DEP_1)
	v_and_b32_e32 v4, v5, v7
	v_mad_u32 v9, v4, 24, v9
	global_load_b64 v[4:5], v[8:9], off scope:SCOPE_SYS
	s_wait_xcnt 0x0
	s_wait_loadcnt 0x0
	global_atomic_cmpswap_b64 v[10:11], v1, v[4:7], s[8:9] offset:24 th:TH_ATOMIC_RETURN scope:SCOPE_SYS
	s_wait_loadcnt 0x0
	global_inv scope:SCOPE_SYS
	v_cmp_eq_u64_e32 vcc_lo, v[10:11], v[6:7]
	s_or_b32 s11, vcc_lo, s11
	s_wait_xcnt 0x0
	s_and_not1_b32 exec_lo, exec_lo, s11
	s_cbranch_execnz .LBB6_195
; %bb.196:
	s_or_b32 exec_lo, exec_lo, s11
.LBB6_197:
	s_delay_alu instid0(SALU_CYCLE_1)
	s_or_b32 exec_lo, exec_lo, s10
.LBB6_198:
	s_delay_alu instid0(SALU_CYCLE_1)
	s_or_b32 exec_lo, exec_lo, s3
	v_readfirstlane_b32 s10, v10
	v_mov_b32_e32 v5, 0
	v_readfirstlane_b32 s11, v11
	s_mov_b32 s3, exec_lo
	s_clause 0x1
	global_load_b64 v[12:13], v5, s[8:9] offset:40
	global_load_b128 v[6:9], v5, s[8:9]
	s_wait_loadcnt 0x1
	v_and_b32_e32 v12, s10, v12
	v_and_b32_e32 v13, s11, v13
	s_delay_alu instid0(VALU_DEP_1) | instskip(SKIP_1) | instid1(VALU_DEP_1)
	v_mul_u64_e32 v[10:11], 24, v[12:13]
	s_wait_loadcnt 0x0
	v_add_nc_u64_e32 v[10:11], v[6:7], v[10:11]
	s_wait_xcnt 0x0
	s_and_saveexec_b32 s13, s2
	s_cbranch_execz .LBB6_200
; %bb.199:
	v_mov_b32_e32 v4, s3
	v_mov_b64_e32 v[16:17], 0x100000002
	s_delay_alu instid0(VALU_DEP_2)
	v_mov_b64_e32 v[14:15], v[4:5]
	global_store_b128 v[10:11], v[14:17], off offset:8
.LBB6_200:
	s_wait_xcnt 0x0
	s_or_b32 exec_lo, exec_lo, s13
	v_lshlrev_b64_e32 v[12:13], 12, v[12:13]
	s_mul_i32 s3, s12, s22
	s_mov_b32 s12, 0
	s_lshr_b32 s3, s3, 1
	s_mov_b32 s13, s12
	s_mov_b32 s14, s12
	;; [unrolled: 1-line block ×3, first 2 shown]
	v_add_nc_u64_e32 v[8:9], v[8:9], v[12:13]
	v_mov_b64_e32 v[12:13], s[12:13]
	v_mov_b64_e32 v[14:15], s[14:15]
	v_and_or_b32 v2, 0xffffff1d, v2, 34
	v_mov_b32_e32 v4, s3
	v_readfirstlane_b32 s16, v8
	v_readfirstlane_b32 s17, v9
	s_clause 0x3
	global_store_b128 v0, v[2:5], s[16:17]
	global_store_b128 v0, v[12:15], s[16:17] offset:16
	global_store_b128 v0, v[12:15], s[16:17] offset:32
	;; [unrolled: 1-line block ×3, first 2 shown]
	s_wait_xcnt 0x0
	s_and_saveexec_b32 s3, s2
	s_cbranch_execz .LBB6_208
; %bb.201:
	v_dual_mov_b32 v1, 0 :: v_dual_mov_b32 v13, s11
	s_mov_b32 s12, exec_lo
	s_clause 0x1
	global_load_b64 v[14:15], v1, s[8:9] offset:32 scope:SCOPE_SYS
	global_load_b64 v[2:3], v1, s[8:9] offset:40
	s_wait_loadcnt 0x0
	v_dual_mov_b32 v12, s10 :: v_dual_bitop2_b32 v3, s11, v3 bitop3:0x40
	v_and_b32_e32 v2, s10, v2
	s_delay_alu instid0(VALU_DEP_1) | instskip(NEXT) | instid1(VALU_DEP_1)
	v_mul_u64_e32 v[2:3], 24, v[2:3]
	v_add_nc_u64_e32 v[6:7], v[6:7], v[2:3]
	global_store_b64 v[6:7], v[14:15], off
	global_wb scope:SCOPE_SYS
	s_wait_storecnt 0x0
	s_wait_xcnt 0x0
	global_atomic_cmpswap_b64 v[4:5], v1, v[12:15], s[8:9] offset:32 th:TH_ATOMIC_RETURN scope:SCOPE_SYS
	s_wait_loadcnt 0x0
	v_cmpx_ne_u64_e64 v[4:5], v[14:15]
	s_cbranch_execz .LBB6_204
; %bb.202:
	s_mov_b32 s13, 0
.LBB6_203:                              ; =>This Inner Loop Header: Depth=1
	v_dual_mov_b32 v2, s10 :: v_dual_mov_b32 v3, s11
	s_sleep 1
	global_store_b64 v[6:7], v[4:5], off
	global_wb scope:SCOPE_SYS
	s_wait_storecnt 0x0
	s_wait_xcnt 0x0
	global_atomic_cmpswap_b64 v[2:3], v1, v[2:5], s[8:9] offset:32 th:TH_ATOMIC_RETURN scope:SCOPE_SYS
	s_wait_loadcnt 0x0
	v_cmp_eq_u64_e32 vcc_lo, v[2:3], v[4:5]
	v_mov_b64_e32 v[4:5], v[2:3]
	s_or_b32 s13, vcc_lo, s13
	s_delay_alu instid0(SALU_CYCLE_1)
	s_and_not1_b32 exec_lo, exec_lo, s13
	s_cbranch_execnz .LBB6_203
.LBB6_204:
	s_or_b32 exec_lo, exec_lo, s12
	v_mov_b32_e32 v5, 0
	s_mov_b32 s13, exec_lo
	s_mov_b32 s12, exec_lo
	v_mbcnt_lo_u32_b32 v1, s13, 0
	global_load_b64 v[2:3], v5, s[8:9] offset:16
	s_wait_xcnt 0x0
	v_cmpx_eq_u32_e32 0, v1
	s_cbranch_execz .LBB6_206
; %bb.205:
	s_bcnt1_i32_b32 s13, s13
	s_delay_alu instid0(SALU_CYCLE_1)
	v_mov_b32_e32 v4, s13
	global_wb scope:SCOPE_SYS
	s_wait_loadcnt 0x0
	s_wait_storecnt 0x0
	global_atomic_add_u64 v[2:3], v[4:5], off offset:8 scope:SCOPE_SYS
.LBB6_206:
	s_wait_xcnt 0x0
	s_or_b32 exec_lo, exec_lo, s12
	s_wait_loadcnt 0x0
	global_load_b64 v[4:5], v[2:3], off offset:16
	s_wait_loadcnt 0x0
	v_cmp_eq_u64_e32 vcc_lo, 0, v[4:5]
	s_cbranch_vccnz .LBB6_208
; %bb.207:
	global_load_b32 v2, v[2:3], off offset:24
	s_wait_xcnt 0x0
	v_mov_b32_e32 v3, 0
	s_wait_loadcnt 0x0
	v_readfirstlane_b32 s12, v2
	global_wb scope:SCOPE_SYS
	s_wait_storecnt 0x0
	global_store_b64 v[4:5], v[2:3], off scope:SCOPE_SYS
	s_and_b32 m0, s12, 0xffffff
	s_sendmsg sendmsg(MSG_INTERRUPT)
.LBB6_208:
	s_wait_xcnt 0x0
	s_or_b32 exec_lo, exec_lo, s3
	s_branch .LBB6_212
.LBB6_209:                              ;   in Loop: Header=BB6_212 Depth=1
	s_wait_xcnt 0x0
	s_or_b32 exec_lo, exec_lo, s3
	s_delay_alu instid0(VALU_DEP_1)
	v_readfirstlane_b32 s3, v1
	s_cmp_eq_u32 s3, 0
	s_cbranch_scc1 .LBB6_211
; %bb.210:                              ;   in Loop: Header=BB6_212 Depth=1
	s_sleep 1
	s_cbranch_execnz .LBB6_212
	s_branch .LBB6_214
.LBB6_211:
	s_branch .LBB6_214
.LBB6_212:                              ; =>This Inner Loop Header: Depth=1
	v_mov_b32_e32 v1, 1
	s_and_saveexec_b32 s3, s2
	s_cbranch_execz .LBB6_209
; %bb.213:                              ;   in Loop: Header=BB6_212 Depth=1
	global_load_b32 v1, v[10:11], off offset:20 scope:SCOPE_SYS
	s_wait_loadcnt 0x0
	global_inv scope:SCOPE_SYS
	v_and_b32_e32 v1, 1, v1
	s_branch .LBB6_209
.LBB6_214:
	s_and_saveexec_b32 s12, s2
	s_cbranch_execz .LBB6_218
; %bb.215:
	v_mov_b32_e32 v1, 0
	s_clause 0x2
	global_load_b64 v[2:3], v1, s[8:9] offset:40
	global_load_b64 v[10:11], v1, s[8:9] offset:24 scope:SCOPE_SYS
	global_load_b64 v[4:5], v1, s[8:9]
	s_wait_loadcnt 0x2
	v_readfirstlane_b32 s14, v2
	v_readfirstlane_b32 s15, v3
	s_add_nc_u64 s[2:3], s[14:15], 1
	s_delay_alu instid0(SALU_CYCLE_1) | instskip(NEXT) | instid1(SALU_CYCLE_1)
	s_add_nc_u64 s[10:11], s[2:3], s[10:11]
	s_cmp_eq_u64 s[10:11], 0
	s_cselect_b32 s3, s3, s11
	s_cselect_b32 s2, s2, s10
	v_mov_b32_e32 v9, s3
	s_and_b64 s[10:11], s[2:3], s[14:15]
	v_mov_b32_e32 v8, s2
	s_mul_u64 s[10:11], s[10:11], 24
	s_wait_loadcnt 0x0
	v_add_nc_u64_e32 v[6:7], s[10:11], v[4:5]
	global_store_b64 v[6:7], v[10:11], off
	global_wb scope:SCOPE_SYS
	s_wait_storecnt 0x0
	s_wait_xcnt 0x0
	global_atomic_cmpswap_b64 v[4:5], v1, v[8:11], s[8:9] offset:24 th:TH_ATOMIC_RETURN scope:SCOPE_SYS
	s_wait_loadcnt 0x0
	v_cmp_ne_u64_e32 vcc_lo, v[4:5], v[10:11]
	s_and_b32 exec_lo, exec_lo, vcc_lo
	s_cbranch_execz .LBB6_218
; %bb.216:
	s_mov_b32 s10, 0
.LBB6_217:                              ; =>This Inner Loop Header: Depth=1
	v_dual_mov_b32 v2, s2 :: v_dual_mov_b32 v3, s3
	s_sleep 1
	global_store_b64 v[6:7], v[4:5], off
	global_wb scope:SCOPE_SYS
	s_wait_storecnt 0x0
	s_wait_xcnt 0x0
	global_atomic_cmpswap_b64 v[2:3], v1, v[2:5], s[8:9] offset:24 th:TH_ATOMIC_RETURN scope:SCOPE_SYS
	s_wait_loadcnt 0x0
	v_cmp_eq_u64_e32 vcc_lo, v[2:3], v[4:5]
	v_mov_b64_e32 v[4:5], v[2:3]
	s_or_b32 s10, vcc_lo, s10
	s_delay_alu instid0(SALU_CYCLE_1)
	s_and_not1_b32 exec_lo, exec_lo, s10
	s_cbranch_execnz .LBB6_217
.LBB6_218:
	s_or_b32 exec_lo, exec_lo, s12
	v_readfirstlane_b32 s2, v29
	v_mov_b64_e32 v[6:7], 0
	s_delay_alu instid0(VALU_DEP_2)
	v_cmp_eq_u32_e64 s2, s2, v29
	s_and_saveexec_b32 s3, s2
	s_cbranch_execz .LBB6_224
; %bb.219:
	v_mov_b32_e32 v1, 0
	s_mov_b32 s10, exec_lo
	global_load_b64 v[4:5], v1, s[8:9] offset:24 scope:SCOPE_SYS
	s_wait_loadcnt 0x0
	global_inv scope:SCOPE_SYS
	s_clause 0x1
	global_load_b64 v[2:3], v1, s[8:9] offset:40
	global_load_b64 v[6:7], v1, s[8:9]
	s_wait_loadcnt 0x1
	v_and_b32_e32 v2, v2, v4
	v_and_b32_e32 v3, v3, v5
	s_delay_alu instid0(VALU_DEP_1) | instskip(SKIP_1) | instid1(VALU_DEP_1)
	v_mul_u64_e32 v[2:3], 24, v[2:3]
	s_wait_loadcnt 0x0
	v_add_nc_u64_e32 v[2:3], v[6:7], v[2:3]
	global_load_b64 v[2:3], v[2:3], off scope:SCOPE_SYS
	s_wait_xcnt 0x0
	s_wait_loadcnt 0x0
	global_atomic_cmpswap_b64 v[6:7], v1, v[2:5], s[8:9] offset:24 th:TH_ATOMIC_RETURN scope:SCOPE_SYS
	s_wait_loadcnt 0x0
	global_inv scope:SCOPE_SYS
	s_wait_xcnt 0x0
	v_cmpx_ne_u64_e64 v[6:7], v[4:5]
	s_cbranch_execz .LBB6_223
; %bb.220:
	s_mov_b32 s11, 0
.LBB6_221:                              ; =>This Inner Loop Header: Depth=1
	s_sleep 1
	s_clause 0x1
	global_load_b64 v[2:3], v1, s[8:9] offset:40
	global_load_b64 v[8:9], v1, s[8:9]
	v_mov_b64_e32 v[4:5], v[6:7]
	s_wait_loadcnt 0x1
	s_delay_alu instid0(VALU_DEP_1) | instskip(SKIP_1) | instid1(VALU_DEP_1)
	v_and_b32_e32 v2, v2, v4
	s_wait_loadcnt 0x0
	v_mad_nc_u64_u32 v[6:7], v2, 24, v[8:9]
	s_delay_alu instid0(VALU_DEP_3) | instskip(NEXT) | instid1(VALU_DEP_1)
	v_and_b32_e32 v2, v3, v5
	v_mad_u32 v7, v2, 24, v7
	global_load_b64 v[2:3], v[6:7], off scope:SCOPE_SYS
	s_wait_xcnt 0x0
	s_wait_loadcnt 0x0
	global_atomic_cmpswap_b64 v[6:7], v1, v[2:5], s[8:9] offset:24 th:TH_ATOMIC_RETURN scope:SCOPE_SYS
	s_wait_loadcnt 0x0
	global_inv scope:SCOPE_SYS
	v_cmp_eq_u64_e32 vcc_lo, v[6:7], v[4:5]
	s_or_b32 s11, vcc_lo, s11
	s_wait_xcnt 0x0
	s_and_not1_b32 exec_lo, exec_lo, s11
	s_cbranch_execnz .LBB6_221
; %bb.222:
	s_or_b32 exec_lo, exec_lo, s11
.LBB6_223:
	s_delay_alu instid0(SALU_CYCLE_1)
	s_or_b32 exec_lo, exec_lo, s10
.LBB6_224:
	s_delay_alu instid0(SALU_CYCLE_1)
	s_or_b32 exec_lo, exec_lo, s3
	v_readfirstlane_b32 s10, v6
	v_mov_b32_e32 v1, 0
	v_readfirstlane_b32 s11, v7
	s_mov_b32 s3, exec_lo
	s_clause 0x1
	global_load_b64 v[8:9], v1, s[8:9] offset:40
	global_load_b128 v[2:5], v1, s[8:9]
	s_wait_loadcnt 0x1
	v_and_b32_e32 v8, s10, v8
	v_and_b32_e32 v9, s11, v9
	s_delay_alu instid0(VALU_DEP_1) | instskip(SKIP_1) | instid1(VALU_DEP_1)
	v_mul_u64_e32 v[6:7], 24, v[8:9]
	s_wait_loadcnt 0x0
	v_add_nc_u64_e32 v[6:7], v[2:3], v[6:7]
	s_wait_xcnt 0x0
	s_and_saveexec_b32 s12, s2
	s_cbranch_execz .LBB6_226
; %bb.225:
	v_mov_b64_e32 v[12:13], 0x100000002
	v_dual_mov_b32 v10, s3 :: v_dual_mov_b32 v11, v1
	global_store_b128 v[6:7], v[10:13], off offset:8
.LBB6_226:
	s_wait_xcnt 0x0
	s_or_b32 exec_lo, exec_lo, s12
	v_lshlrev_b64_e32 v[8:9], 12, v[8:9]
	s_mov_b32 s12, 0
	v_dual_mov_b32 v10, 33 :: v_dual_mov_b32 v11, v1
	s_mov_b32 s14, s12
	s_mov_b32 s15, s12
	;; [unrolled: 1-line block ×3, first 2 shown]
	s_delay_alu instid0(VALU_DEP_2) | instskip(SKIP_3) | instid1(VALU_DEP_4)
	v_add_nc_u64_e32 v[8:9], v[4:5], v[8:9]
	v_mov_b64_e32 v[16:17], s[14:15]
	v_mov_b64_e32 v[14:15], s[12:13]
	v_dual_mov_b32 v12, v1 :: v_dual_mov_b32 v13, v1
	v_readfirstlane_b32 s16, v8
	v_readfirstlane_b32 s17, v9
	s_clause 0x3
	global_store_b128 v0, v[10:13], s[16:17]
	global_store_b128 v0, v[14:17], s[16:17] offset:16
	global_store_b128 v0, v[14:17], s[16:17] offset:32
	;; [unrolled: 1-line block ×3, first 2 shown]
	s_wait_xcnt 0x0
	s_and_saveexec_b32 s3, s2
	s_cbranch_execz .LBB6_234
; %bb.227:
	v_dual_mov_b32 v12, 0 :: v_dual_mov_b32 v15, s11
	s_mov_b32 s12, exec_lo
	s_clause 0x1
	global_load_b64 v[16:17], v12, s[8:9] offset:32 scope:SCOPE_SYS
	global_load_b64 v[4:5], v12, s[8:9] offset:40
	s_wait_loadcnt 0x0
	v_dual_mov_b32 v14, s10 :: v_dual_bitop2_b32 v5, s11, v5 bitop3:0x40
	v_and_b32_e32 v4, s10, v4
	s_delay_alu instid0(VALU_DEP_1) | instskip(NEXT) | instid1(VALU_DEP_1)
	v_mul_u64_e32 v[4:5], 24, v[4:5]
	v_add_nc_u64_e32 v[10:11], v[2:3], v[4:5]
	global_store_b64 v[10:11], v[16:17], off
	global_wb scope:SCOPE_SYS
	s_wait_storecnt 0x0
	s_wait_xcnt 0x0
	global_atomic_cmpswap_b64 v[4:5], v12, v[14:17], s[8:9] offset:32 th:TH_ATOMIC_RETURN scope:SCOPE_SYS
	s_wait_loadcnt 0x0
	v_cmpx_ne_u64_e64 v[4:5], v[16:17]
	s_cbranch_execz .LBB6_230
; %bb.228:
	s_mov_b32 s13, 0
.LBB6_229:                              ; =>This Inner Loop Header: Depth=1
	v_dual_mov_b32 v2, s10 :: v_dual_mov_b32 v3, s11
	s_sleep 1
	global_store_b64 v[10:11], v[4:5], off
	global_wb scope:SCOPE_SYS
	s_wait_storecnt 0x0
	s_wait_xcnt 0x0
	global_atomic_cmpswap_b64 v[2:3], v12, v[2:5], s[8:9] offset:32 th:TH_ATOMIC_RETURN scope:SCOPE_SYS
	s_wait_loadcnt 0x0
	v_cmp_eq_u64_e32 vcc_lo, v[2:3], v[4:5]
	v_mov_b64_e32 v[4:5], v[2:3]
	s_or_b32 s13, vcc_lo, s13
	s_delay_alu instid0(SALU_CYCLE_1)
	s_and_not1_b32 exec_lo, exec_lo, s13
	s_cbranch_execnz .LBB6_229
.LBB6_230:
	s_or_b32 exec_lo, exec_lo, s12
	v_mov_b32_e32 v5, 0
	s_mov_b32 s13, exec_lo
	s_mov_b32 s12, exec_lo
	v_mbcnt_lo_u32_b32 v4, s13, 0
	global_load_b64 v[2:3], v5, s[8:9] offset:16
	s_wait_xcnt 0x0
	v_cmpx_eq_u32_e32 0, v4
	s_cbranch_execz .LBB6_232
; %bb.231:
	s_bcnt1_i32_b32 s13, s13
	s_delay_alu instid0(SALU_CYCLE_1)
	v_mov_b32_e32 v4, s13
	global_wb scope:SCOPE_SYS
	s_wait_loadcnt 0x0
	s_wait_storecnt 0x0
	global_atomic_add_u64 v[2:3], v[4:5], off offset:8 scope:SCOPE_SYS
.LBB6_232:
	s_wait_xcnt 0x0
	s_or_b32 exec_lo, exec_lo, s12
	s_wait_loadcnt 0x0
	global_load_b64 v[4:5], v[2:3], off offset:16
	s_wait_loadcnt 0x0
	v_cmp_eq_u64_e32 vcc_lo, 0, v[4:5]
	s_cbranch_vccnz .LBB6_234
; %bb.233:
	global_load_b32 v2, v[2:3], off offset:24
	s_wait_xcnt 0x0
	v_mov_b32_e32 v3, 0
	s_wait_loadcnt 0x0
	v_readfirstlane_b32 s12, v2
	global_wb scope:SCOPE_SYS
	s_wait_storecnt 0x0
	global_store_b64 v[4:5], v[2:3], off scope:SCOPE_SYS
	s_and_b32 m0, s12, 0xffffff
	s_sendmsg sendmsg(MSG_INTERRUPT)
.LBB6_234:
	s_wait_xcnt 0x0
	s_or_b32 exec_lo, exec_lo, s3
	v_add_nc_u64_e32 v[2:3], v[8:9], v[0:1]
	s_branch .LBB6_238
.LBB6_235:                              ;   in Loop: Header=BB6_238 Depth=1
	s_wait_xcnt 0x0
	s_or_b32 exec_lo, exec_lo, s3
	s_delay_alu instid0(VALU_DEP_1)
	v_readfirstlane_b32 s3, v1
	s_cmp_eq_u32 s3, 0
	s_cbranch_scc1 .LBB6_237
; %bb.236:                              ;   in Loop: Header=BB6_238 Depth=1
	s_sleep 1
	s_cbranch_execnz .LBB6_238
	s_branch .LBB6_240
.LBB6_237:
	s_branch .LBB6_240
.LBB6_238:                              ; =>This Inner Loop Header: Depth=1
	v_mov_b32_e32 v1, 1
	s_and_saveexec_b32 s3, s2
	s_cbranch_execz .LBB6_235
; %bb.239:                              ;   in Loop: Header=BB6_238 Depth=1
	global_load_b32 v1, v[6:7], off offset:20 scope:SCOPE_SYS
	s_wait_loadcnt 0x0
	global_inv scope:SCOPE_SYS
	v_and_b32_e32 v1, 1, v1
	s_branch .LBB6_235
.LBB6_240:
	global_load_b64 v[2:3], v[2:3], off
	s_wait_xcnt 0x0
	s_and_saveexec_b32 s12, s2
	s_cbranch_execz .LBB6_244
; %bb.241:
	v_mov_b32_e32 v1, 0
	s_clause 0x2
	global_load_b64 v[4:5], v1, s[8:9] offset:40
	global_load_b64 v[12:13], v1, s[8:9] offset:24 scope:SCOPE_SYS
	global_load_b64 v[6:7], v1, s[8:9]
	s_wait_loadcnt 0x2
	v_readfirstlane_b32 s14, v4
	v_readfirstlane_b32 s15, v5
	s_add_nc_u64 s[2:3], s[14:15], 1
	s_delay_alu instid0(SALU_CYCLE_1) | instskip(NEXT) | instid1(SALU_CYCLE_1)
	s_add_nc_u64 s[10:11], s[2:3], s[10:11]
	s_cmp_eq_u64 s[10:11], 0
	s_cselect_b32 s3, s3, s11
	s_cselect_b32 s2, s2, s10
	v_mov_b32_e32 v11, s3
	s_and_b64 s[10:11], s[2:3], s[14:15]
	v_mov_b32_e32 v10, s2
	s_mul_u64 s[10:11], s[10:11], 24
	s_wait_loadcnt 0x0
	v_add_nc_u64_e32 v[8:9], s[10:11], v[6:7]
	global_store_b64 v[8:9], v[12:13], off
	global_wb scope:SCOPE_SYS
	s_wait_storecnt 0x0
	s_wait_xcnt 0x0
	global_atomic_cmpswap_b64 v[6:7], v1, v[10:13], s[8:9] offset:24 th:TH_ATOMIC_RETURN scope:SCOPE_SYS
	s_wait_loadcnt 0x0
	v_cmp_ne_u64_e32 vcc_lo, v[6:7], v[12:13]
	s_and_b32 exec_lo, exec_lo, vcc_lo
	s_cbranch_execz .LBB6_244
; %bb.242:
	s_mov_b32 s10, 0
.LBB6_243:                              ; =>This Inner Loop Header: Depth=1
	v_dual_mov_b32 v4, s2 :: v_dual_mov_b32 v5, s3
	s_sleep 1
	global_store_b64 v[8:9], v[6:7], off
	global_wb scope:SCOPE_SYS
	s_wait_storecnt 0x0
	s_wait_xcnt 0x0
	global_atomic_cmpswap_b64 v[4:5], v1, v[4:7], s[8:9] offset:24 th:TH_ATOMIC_RETURN scope:SCOPE_SYS
	s_wait_loadcnt 0x0
	v_cmp_eq_u64_e32 vcc_lo, v[4:5], v[6:7]
	v_mov_b64_e32 v[6:7], v[4:5]
	s_or_b32 s10, vcc_lo, s10
	s_delay_alu instid0(SALU_CYCLE_1)
	s_and_not1_b32 exec_lo, exec_lo, s10
	s_cbranch_execnz .LBB6_243
.LBB6_244:
	s_or_b32 exec_lo, exec_lo, s12
	s_get_pc_i64 s[10:11]
	s_add_nc_u64 s[10:11], s[10:11], .str.1@rel64+4
	s_delay_alu instid0(SALU_CYCLE_1)
	s_cmp_lg_u64 s[10:11], 0
	s_cbranch_scc0 .LBB6_323
; %bb.245:
	v_mov_b64_e32 v[10:11], 0x100000002
	s_wait_loadcnt 0x0
	v_dual_mov_b32 v9, 0 :: v_dual_bitop2_b32 v30, 2, v2 bitop3:0x40
	v_dual_mov_b32 v5, v3 :: v_dual_bitop2_b32 v4, -3, v2 bitop3:0x40
	s_mov_b64 s[12:13], 48
	s_branch .LBB6_247
.LBB6_246:                              ;   in Loop: Header=BB6_247 Depth=1
	s_or_b32 exec_lo, exec_lo, s18
	s_sub_nc_u64 s[12:13], s[12:13], s[14:15]
	s_add_nc_u64 s[10:11], s[10:11], s[14:15]
	s_cmp_lg_u64 s[12:13], 0
	s_cbranch_scc0 .LBB6_322
.LBB6_247:                              ; =>This Loop Header: Depth=1
                                        ;     Child Loop BB6_250 Depth 2
                                        ;     Child Loop BB6_257 Depth 2
	;; [unrolled: 1-line block ×11, first 2 shown]
	v_min_u64 v[6:7], s[12:13], 56
	v_cmp_gt_u64_e64 s2, s[12:13], 7
	s_and_b32 vcc_lo, exec_lo, s2
	v_readfirstlane_b32 s14, v6
	v_readfirstlane_b32 s15, v7
	s_cbranch_vccnz .LBB6_252
; %bb.248:                              ;   in Loop: Header=BB6_247 Depth=1
	v_mov_b64_e32 v[6:7], 0
	s_cmp_eq_u64 s[12:13], 0
	s_cbranch_scc1 .LBB6_251
; %bb.249:                              ;   in Loop: Header=BB6_247 Depth=1
	s_mov_b64 s[2:3], 0
	s_mov_b64 s[16:17], 0
.LBB6_250:                              ;   Parent Loop BB6_247 Depth=1
                                        ; =>  This Inner Loop Header: Depth=2
	s_wait_xcnt 0x0
	s_add_nc_u64 s[18:19], s[10:11], s[16:17]
	s_add_nc_u64 s[16:17], s[16:17], 1
	global_load_u8 v1, v9, s[18:19]
	s_cmp_lg_u32 s14, s16
	s_wait_loadcnt 0x0
	v_and_b32_e32 v8, 0xffff, v1
	s_delay_alu instid0(VALU_DEP_1) | instskip(SKIP_1) | instid1(VALU_DEP_1)
	v_lshlrev_b64_e32 v[12:13], s2, v[8:9]
	s_add_nc_u64 s[2:3], s[2:3], 8
	v_or_b32_e32 v6, v12, v6
	s_delay_alu instid0(VALU_DEP_2)
	v_or_b32_e32 v7, v13, v7
	s_cbranch_scc1 .LBB6_250
.LBB6_251:                              ;   in Loop: Header=BB6_247 Depth=1
	s_mov_b64 s[16:17], s[10:11]
	s_mov_b32 s20, 0
	s_cbranch_execz .LBB6_253
	s_branch .LBB6_254
.LBB6_252:                              ;   in Loop: Header=BB6_247 Depth=1
	s_add_nc_u64 s[16:17], s[10:11], 8
	s_mov_b32 s20, 0
.LBB6_253:                              ;   in Loop: Header=BB6_247 Depth=1
	global_load_b64 v[6:7], v9, s[10:11]
	s_add_co_i32 s20, s14, -8
.LBB6_254:                              ;   in Loop: Header=BB6_247 Depth=1
	s_delay_alu instid0(SALU_CYCLE_1)
	s_cmp_gt_u32 s20, 7
	s_cbranch_scc1 .LBB6_259
; %bb.255:                              ;   in Loop: Header=BB6_247 Depth=1
	v_mov_b64_e32 v[12:13], 0
	s_cmp_eq_u32 s20, 0
	s_cbranch_scc1 .LBB6_258
; %bb.256:                              ;   in Loop: Header=BB6_247 Depth=1
	s_mov_b64 s[2:3], 0
	s_wait_xcnt 0x0
	s_mov_b64 s[18:19], 0
.LBB6_257:                              ;   Parent Loop BB6_247 Depth=1
                                        ; =>  This Inner Loop Header: Depth=2
	s_wait_xcnt 0x0
	s_add_nc_u64 s[24:25], s[16:17], s[18:19]
	s_add_nc_u64 s[18:19], s[18:19], 1
	global_load_u8 v1, v9, s[24:25]
	s_cmp_lg_u32 s20, s18
	s_wait_loadcnt 0x0
	v_and_b32_e32 v8, 0xffff, v1
	s_delay_alu instid0(VALU_DEP_1) | instskip(SKIP_1) | instid1(VALU_DEP_1)
	v_lshlrev_b64_e32 v[14:15], s2, v[8:9]
	s_add_nc_u64 s[2:3], s[2:3], 8
	v_or_b32_e32 v12, v14, v12
	s_delay_alu instid0(VALU_DEP_2)
	v_or_b32_e32 v13, v15, v13
	s_cbranch_scc1 .LBB6_257
.LBB6_258:                              ;   in Loop: Header=BB6_247 Depth=1
	s_wait_xcnt 0x0
	s_mov_b64 s[2:3], s[16:17]
	s_mov_b32 s21, 0
	s_cbranch_execz .LBB6_260
	s_branch .LBB6_261
.LBB6_259:                              ;   in Loop: Header=BB6_247 Depth=1
	s_add_nc_u64 s[2:3], s[16:17], 8
	s_wait_xcnt 0x0
                                        ; implicit-def: $vgpr12_vgpr13
	s_mov_b32 s21, 0
.LBB6_260:                              ;   in Loop: Header=BB6_247 Depth=1
	global_load_b64 v[12:13], v9, s[16:17]
	s_add_co_i32 s21, s20, -8
.LBB6_261:                              ;   in Loop: Header=BB6_247 Depth=1
	s_delay_alu instid0(SALU_CYCLE_1)
	s_cmp_gt_u32 s21, 7
	s_cbranch_scc1 .LBB6_266
; %bb.262:                              ;   in Loop: Header=BB6_247 Depth=1
	v_mov_b64_e32 v[14:15], 0
	s_cmp_eq_u32 s21, 0
	s_cbranch_scc1 .LBB6_265
; %bb.263:                              ;   in Loop: Header=BB6_247 Depth=1
	s_wait_xcnt 0x0
	s_mov_b64 s[16:17], 0
	s_mov_b64 s[18:19], 0
.LBB6_264:                              ;   Parent Loop BB6_247 Depth=1
                                        ; =>  This Inner Loop Header: Depth=2
	s_wait_xcnt 0x0
	s_add_nc_u64 s[24:25], s[2:3], s[18:19]
	s_add_nc_u64 s[18:19], s[18:19], 1
	global_load_u8 v1, v9, s[24:25]
	s_cmp_lg_u32 s21, s18
	s_wait_loadcnt 0x0
	v_and_b32_e32 v8, 0xffff, v1
	s_delay_alu instid0(VALU_DEP_1) | instskip(SKIP_1) | instid1(VALU_DEP_1)
	v_lshlrev_b64_e32 v[16:17], s16, v[8:9]
	s_add_nc_u64 s[16:17], s[16:17], 8
	v_or_b32_e32 v14, v16, v14
	s_delay_alu instid0(VALU_DEP_2)
	v_or_b32_e32 v15, v17, v15
	s_cbranch_scc1 .LBB6_264
.LBB6_265:                              ;   in Loop: Header=BB6_247 Depth=1
	s_wait_xcnt 0x0
	s_mov_b64 s[16:17], s[2:3]
	s_mov_b32 s20, 0
	s_cbranch_execz .LBB6_267
	s_branch .LBB6_268
.LBB6_266:                              ;   in Loop: Header=BB6_247 Depth=1
	s_wait_xcnt 0x0
	s_add_nc_u64 s[16:17], s[2:3], 8
	s_mov_b32 s20, 0
.LBB6_267:                              ;   in Loop: Header=BB6_247 Depth=1
	global_load_b64 v[14:15], v9, s[2:3]
	s_add_co_i32 s20, s21, -8
.LBB6_268:                              ;   in Loop: Header=BB6_247 Depth=1
	s_delay_alu instid0(SALU_CYCLE_1)
	s_cmp_gt_u32 s20, 7
	s_cbranch_scc1 .LBB6_273
; %bb.269:                              ;   in Loop: Header=BB6_247 Depth=1
	v_mov_b64_e32 v[16:17], 0
	s_cmp_eq_u32 s20, 0
	s_cbranch_scc1 .LBB6_272
; %bb.270:                              ;   in Loop: Header=BB6_247 Depth=1
	s_wait_xcnt 0x0
	s_mov_b64 s[2:3], 0
	s_mov_b64 s[18:19], 0
.LBB6_271:                              ;   Parent Loop BB6_247 Depth=1
                                        ; =>  This Inner Loop Header: Depth=2
	s_wait_xcnt 0x0
	s_add_nc_u64 s[24:25], s[16:17], s[18:19]
	s_add_nc_u64 s[18:19], s[18:19], 1
	global_load_u8 v1, v9, s[24:25]
	s_cmp_lg_u32 s20, s18
	s_wait_loadcnt 0x0
	v_and_b32_e32 v8, 0xffff, v1
	s_delay_alu instid0(VALU_DEP_1) | instskip(SKIP_1) | instid1(VALU_DEP_1)
	v_lshlrev_b64_e32 v[18:19], s2, v[8:9]
	s_add_nc_u64 s[2:3], s[2:3], 8
	v_or_b32_e32 v16, v18, v16
	s_delay_alu instid0(VALU_DEP_2)
	v_or_b32_e32 v17, v19, v17
	s_cbranch_scc1 .LBB6_271
.LBB6_272:                              ;   in Loop: Header=BB6_247 Depth=1
	s_wait_xcnt 0x0
	s_mov_b64 s[2:3], s[16:17]
	s_mov_b32 s21, 0
	s_cbranch_execz .LBB6_274
	s_branch .LBB6_275
.LBB6_273:                              ;   in Loop: Header=BB6_247 Depth=1
	s_wait_xcnt 0x0
	s_add_nc_u64 s[2:3], s[16:17], 8
                                        ; implicit-def: $vgpr16_vgpr17
	s_mov_b32 s21, 0
.LBB6_274:                              ;   in Loop: Header=BB6_247 Depth=1
	global_load_b64 v[16:17], v9, s[16:17]
	s_add_co_i32 s21, s20, -8
.LBB6_275:                              ;   in Loop: Header=BB6_247 Depth=1
	s_delay_alu instid0(SALU_CYCLE_1)
	s_cmp_gt_u32 s21, 7
	s_cbranch_scc1 .LBB6_280
; %bb.276:                              ;   in Loop: Header=BB6_247 Depth=1
	v_mov_b64_e32 v[18:19], 0
	s_cmp_eq_u32 s21, 0
	s_cbranch_scc1 .LBB6_279
; %bb.277:                              ;   in Loop: Header=BB6_247 Depth=1
	s_wait_xcnt 0x0
	s_mov_b64 s[16:17], 0
	s_mov_b64 s[18:19], 0
.LBB6_278:                              ;   Parent Loop BB6_247 Depth=1
                                        ; =>  This Inner Loop Header: Depth=2
	s_wait_xcnt 0x0
	s_add_nc_u64 s[24:25], s[2:3], s[18:19]
	s_add_nc_u64 s[18:19], s[18:19], 1
	global_load_u8 v1, v9, s[24:25]
	s_cmp_lg_u32 s21, s18
	s_wait_loadcnt 0x0
	v_and_b32_e32 v8, 0xffff, v1
	s_delay_alu instid0(VALU_DEP_1) | instskip(SKIP_1) | instid1(VALU_DEP_1)
	v_lshlrev_b64_e32 v[20:21], s16, v[8:9]
	s_add_nc_u64 s[16:17], s[16:17], 8
	v_or_b32_e32 v18, v20, v18
	s_delay_alu instid0(VALU_DEP_2)
	v_or_b32_e32 v19, v21, v19
	s_cbranch_scc1 .LBB6_278
.LBB6_279:                              ;   in Loop: Header=BB6_247 Depth=1
	s_wait_xcnt 0x0
	s_mov_b64 s[16:17], s[2:3]
	s_mov_b32 s20, 0
	s_cbranch_execz .LBB6_281
	s_branch .LBB6_282
.LBB6_280:                              ;   in Loop: Header=BB6_247 Depth=1
	s_wait_xcnt 0x0
	s_add_nc_u64 s[16:17], s[2:3], 8
	s_mov_b32 s20, 0
.LBB6_281:                              ;   in Loop: Header=BB6_247 Depth=1
	global_load_b64 v[18:19], v9, s[2:3]
	s_add_co_i32 s20, s21, -8
.LBB6_282:                              ;   in Loop: Header=BB6_247 Depth=1
	s_delay_alu instid0(SALU_CYCLE_1)
	s_cmp_gt_u32 s20, 7
	s_cbranch_scc1 .LBB6_287
; %bb.283:                              ;   in Loop: Header=BB6_247 Depth=1
	v_mov_b64_e32 v[20:21], 0
	s_cmp_eq_u32 s20, 0
	s_cbranch_scc1 .LBB6_286
; %bb.284:                              ;   in Loop: Header=BB6_247 Depth=1
	s_wait_xcnt 0x0
	s_mov_b64 s[2:3], 0
	s_mov_b64 s[18:19], 0
.LBB6_285:                              ;   Parent Loop BB6_247 Depth=1
                                        ; =>  This Inner Loop Header: Depth=2
	s_wait_xcnt 0x0
	s_add_nc_u64 s[24:25], s[16:17], s[18:19]
	s_add_nc_u64 s[18:19], s[18:19], 1
	global_load_u8 v1, v9, s[24:25]
	s_cmp_lg_u32 s20, s18
	s_wait_loadcnt 0x0
	v_and_b32_e32 v8, 0xffff, v1
	s_delay_alu instid0(VALU_DEP_1) | instskip(SKIP_1) | instid1(VALU_DEP_1)
	v_lshlrev_b64_e32 v[22:23], s2, v[8:9]
	s_add_nc_u64 s[2:3], s[2:3], 8
	v_or_b32_e32 v20, v22, v20
	s_delay_alu instid0(VALU_DEP_2)
	v_or_b32_e32 v21, v23, v21
	s_cbranch_scc1 .LBB6_285
.LBB6_286:                              ;   in Loop: Header=BB6_247 Depth=1
	s_wait_xcnt 0x0
	s_mov_b64 s[2:3], s[16:17]
	s_mov_b32 s21, 0
	s_cbranch_execz .LBB6_288
	s_branch .LBB6_289
.LBB6_287:                              ;   in Loop: Header=BB6_247 Depth=1
	s_wait_xcnt 0x0
	s_add_nc_u64 s[2:3], s[16:17], 8
                                        ; implicit-def: $vgpr20_vgpr21
	s_mov_b32 s21, 0
.LBB6_288:                              ;   in Loop: Header=BB6_247 Depth=1
	global_load_b64 v[20:21], v9, s[16:17]
	s_add_co_i32 s21, s20, -8
.LBB6_289:                              ;   in Loop: Header=BB6_247 Depth=1
	s_delay_alu instid0(SALU_CYCLE_1)
	s_cmp_gt_u32 s21, 7
	s_cbranch_scc1 .LBB6_294
; %bb.290:                              ;   in Loop: Header=BB6_247 Depth=1
	v_mov_b64_e32 v[22:23], 0
	s_cmp_eq_u32 s21, 0
	s_cbranch_scc1 .LBB6_293
; %bb.291:                              ;   in Loop: Header=BB6_247 Depth=1
	s_wait_xcnt 0x0
	s_mov_b64 s[16:17], 0
	s_mov_b64 s[18:19], s[2:3]
.LBB6_292:                              ;   Parent Loop BB6_247 Depth=1
                                        ; =>  This Inner Loop Header: Depth=2
	global_load_u8 v1, v9, s[18:19]
	s_add_co_i32 s21, s21, -1
	s_wait_xcnt 0x0
	s_add_nc_u64 s[18:19], s[18:19], 1
	s_cmp_lg_u32 s21, 0
	s_wait_loadcnt 0x0
	v_and_b32_e32 v8, 0xffff, v1
	s_delay_alu instid0(VALU_DEP_1) | instskip(SKIP_1) | instid1(VALU_DEP_1)
	v_lshlrev_b64_e32 v[24:25], s16, v[8:9]
	s_add_nc_u64 s[16:17], s[16:17], 8
	v_or_b32_e32 v22, v24, v22
	s_delay_alu instid0(VALU_DEP_2)
	v_or_b32_e32 v23, v25, v23
	s_cbranch_scc1 .LBB6_292
.LBB6_293:                              ;   in Loop: Header=BB6_247 Depth=1
	s_wait_xcnt 0x0
	s_cbranch_execz .LBB6_295
	s_branch .LBB6_296
.LBB6_294:                              ;   in Loop: Header=BB6_247 Depth=1
	s_wait_xcnt 0x0
.LBB6_295:                              ;   in Loop: Header=BB6_247 Depth=1
	global_load_b64 v[22:23], v9, s[2:3]
.LBB6_296:                              ;   in Loop: Header=BB6_247 Depth=1
	s_wait_xcnt 0x0
	v_readfirstlane_b32 s2, v29
	v_mov_b64_e32 v[32:33], 0
	s_delay_alu instid0(VALU_DEP_2)
	v_cmp_eq_u32_e64 s2, s2, v29
	s_and_saveexec_b32 s3, s2
	s_cbranch_execz .LBB6_302
; %bb.297:                              ;   in Loop: Header=BB6_247 Depth=1
	global_load_b64 v[26:27], v9, s[8:9] offset:24 scope:SCOPE_SYS
	s_wait_loadcnt 0x0
	global_inv scope:SCOPE_SYS
	s_clause 0x1
	global_load_b64 v[24:25], v9, s[8:9] offset:40
	global_load_b64 v[32:33], v9, s[8:9]
	s_mov_b32 s16, exec_lo
	s_wait_loadcnt 0x1
	v_and_b32_e32 v24, v24, v26
	v_and_b32_e32 v25, v25, v27
	s_delay_alu instid0(VALU_DEP_1) | instskip(SKIP_1) | instid1(VALU_DEP_1)
	v_mul_u64_e32 v[24:25], 24, v[24:25]
	s_wait_loadcnt 0x0
	v_add_nc_u64_e32 v[24:25], v[32:33], v[24:25]
	global_load_b64 v[24:25], v[24:25], off scope:SCOPE_SYS
	s_wait_xcnt 0x0
	s_wait_loadcnt 0x0
	global_atomic_cmpswap_b64 v[32:33], v9, v[24:27], s[8:9] offset:24 th:TH_ATOMIC_RETURN scope:SCOPE_SYS
	s_wait_loadcnt 0x0
	global_inv scope:SCOPE_SYS
	s_wait_xcnt 0x0
	v_cmpx_ne_u64_e64 v[32:33], v[26:27]
	s_cbranch_execz .LBB6_301
; %bb.298:                              ;   in Loop: Header=BB6_247 Depth=1
	s_mov_b32 s17, 0
.LBB6_299:                              ;   Parent Loop BB6_247 Depth=1
                                        ; =>  This Inner Loop Header: Depth=2
	s_sleep 1
	s_clause 0x1
	global_load_b64 v[24:25], v9, s[8:9] offset:40
	global_load_b64 v[34:35], v9, s[8:9]
	v_mov_b64_e32 v[26:27], v[32:33]
	s_wait_loadcnt 0x1
	s_delay_alu instid0(VALU_DEP_1) | instskip(SKIP_1) | instid1(VALU_DEP_1)
	v_and_b32_e32 v1, v24, v26
	s_wait_loadcnt 0x0
	v_mad_nc_u64_u32 v[32:33], v1, 24, v[34:35]
	s_delay_alu instid0(VALU_DEP_3) | instskip(NEXT) | instid1(VALU_DEP_1)
	v_and_b32_e32 v1, v25, v27
	v_mad_u32 v33, v1, 24, v33
	global_load_b64 v[24:25], v[32:33], off scope:SCOPE_SYS
	s_wait_xcnt 0x0
	s_wait_loadcnt 0x0
	global_atomic_cmpswap_b64 v[32:33], v9, v[24:27], s[8:9] offset:24 th:TH_ATOMIC_RETURN scope:SCOPE_SYS
	s_wait_loadcnt 0x0
	global_inv scope:SCOPE_SYS
	v_cmp_eq_u64_e32 vcc_lo, v[32:33], v[26:27]
	s_or_b32 s17, vcc_lo, s17
	s_wait_xcnt 0x0
	s_and_not1_b32 exec_lo, exec_lo, s17
	s_cbranch_execnz .LBB6_299
; %bb.300:                              ;   in Loop: Header=BB6_247 Depth=1
	s_or_b32 exec_lo, exec_lo, s17
.LBB6_301:                              ;   in Loop: Header=BB6_247 Depth=1
	s_delay_alu instid0(SALU_CYCLE_1)
	s_or_b32 exec_lo, exec_lo, s16
.LBB6_302:                              ;   in Loop: Header=BB6_247 Depth=1
	s_delay_alu instid0(SALU_CYCLE_1)
	s_or_b32 exec_lo, exec_lo, s3
	s_clause 0x1
	global_load_b64 v[34:35], v9, s[8:9] offset:40
	global_load_b128 v[24:27], v9, s[8:9]
	v_readfirstlane_b32 s16, v32
	v_readfirstlane_b32 s17, v33
	s_mov_b32 s3, exec_lo
	s_wait_loadcnt 0x1
	v_and_b32_e32 v34, s16, v34
	v_and_b32_e32 v35, s17, v35
	s_delay_alu instid0(VALU_DEP_1) | instskip(SKIP_1) | instid1(VALU_DEP_1)
	v_mul_u64_e32 v[32:33], 24, v[34:35]
	s_wait_loadcnt 0x0
	v_add_nc_u64_e32 v[32:33], v[24:25], v[32:33]
	s_wait_xcnt 0x0
	s_and_saveexec_b32 s18, s2
	s_cbranch_execz .LBB6_304
; %bb.303:                              ;   in Loop: Header=BB6_247 Depth=1
	v_mov_b32_e32 v8, s3
	global_store_b128 v[32:33], v[8:11], off offset:8
.LBB6_304:                              ;   in Loop: Header=BB6_247 Depth=1
	s_wait_xcnt 0x0
	s_or_b32 exec_lo, exec_lo, s18
	v_cmp_lt_u64_e64 vcc_lo, s[12:13], 57
	v_lshlrev_b64_e32 v[34:35], 12, v[34:35]
	v_and_b32_e32 v4, 0xffffff1f, v4
	s_lshl_b32 s3, s14, 2
	s_delay_alu instid0(SALU_CYCLE_1) | instskip(SKIP_1) | instid1(VALU_DEP_3)
	s_add_co_i32 s3, s3, 28
	v_cndmask_b32_e32 v1, 0, v30, vcc_lo
	v_add_nc_u64_e32 v[26:27], v[26:27], v[34:35]
	s_delay_alu instid0(VALU_DEP_2) | instskip(NEXT) | instid1(VALU_DEP_2)
	v_or_b32_e32 v1, v4, v1
	v_readfirstlane_b32 s18, v26
	s_delay_alu instid0(VALU_DEP_3) | instskip(NEXT) | instid1(VALU_DEP_3)
	v_readfirstlane_b32 s19, v27
	v_and_or_b32 v4, 0x1e0, s3, v1
	s_clause 0x3
	global_store_b128 v0, v[4:7], s[18:19]
	global_store_b128 v0, v[12:15], s[18:19] offset:16
	global_store_b128 v0, v[16:19], s[18:19] offset:32
	;; [unrolled: 1-line block ×3, first 2 shown]
	s_wait_xcnt 0x0
	s_and_saveexec_b32 s3, s2
	s_cbranch_execz .LBB6_312
; %bb.305:                              ;   in Loop: Header=BB6_247 Depth=1
	s_clause 0x1
	global_load_b64 v[16:17], v9, s[8:9] offset:32 scope:SCOPE_SYS
	global_load_b64 v[4:5], v9, s[8:9] offset:40
	s_mov_b32 s18, exec_lo
	v_dual_mov_b32 v14, s16 :: v_dual_mov_b32 v15, s17
	s_wait_loadcnt 0x0
	v_and_b32_e32 v5, s17, v5
	v_and_b32_e32 v4, s16, v4
	s_delay_alu instid0(VALU_DEP_1) | instskip(NEXT) | instid1(VALU_DEP_1)
	v_mul_u64_e32 v[4:5], 24, v[4:5]
	v_add_nc_u64_e32 v[12:13], v[24:25], v[4:5]
	global_store_b64 v[12:13], v[16:17], off
	global_wb scope:SCOPE_SYS
	s_wait_storecnt 0x0
	s_wait_xcnt 0x0
	global_atomic_cmpswap_b64 v[6:7], v9, v[14:17], s[8:9] offset:32 th:TH_ATOMIC_RETURN scope:SCOPE_SYS
	s_wait_loadcnt 0x0
	v_cmpx_ne_u64_e64 v[6:7], v[16:17]
	s_cbranch_execz .LBB6_308
; %bb.306:                              ;   in Loop: Header=BB6_247 Depth=1
	s_mov_b32 s19, 0
.LBB6_307:                              ;   Parent Loop BB6_247 Depth=1
                                        ; =>  This Inner Loop Header: Depth=2
	v_dual_mov_b32 v4, s16 :: v_dual_mov_b32 v5, s17
	s_sleep 1
	global_store_b64 v[12:13], v[6:7], off
	global_wb scope:SCOPE_SYS
	s_wait_storecnt 0x0
	s_wait_xcnt 0x0
	global_atomic_cmpswap_b64 v[4:5], v9, v[4:7], s[8:9] offset:32 th:TH_ATOMIC_RETURN scope:SCOPE_SYS
	s_wait_loadcnt 0x0
	v_cmp_eq_u64_e32 vcc_lo, v[4:5], v[6:7]
	v_mov_b64_e32 v[6:7], v[4:5]
	s_or_b32 s19, vcc_lo, s19
	s_delay_alu instid0(SALU_CYCLE_1)
	s_and_not1_b32 exec_lo, exec_lo, s19
	s_cbranch_execnz .LBB6_307
.LBB6_308:                              ;   in Loop: Header=BB6_247 Depth=1
	s_or_b32 exec_lo, exec_lo, s18
	global_load_b64 v[4:5], v9, s[8:9] offset:16
	s_mov_b32 s19, exec_lo
	s_mov_b32 s18, exec_lo
	v_mbcnt_lo_u32_b32 v1, s19, 0
	s_wait_xcnt 0x0
	s_delay_alu instid0(VALU_DEP_1)
	v_cmpx_eq_u32_e32 0, v1
	s_cbranch_execz .LBB6_310
; %bb.309:                              ;   in Loop: Header=BB6_247 Depth=1
	s_bcnt1_i32_b32 s19, s19
	s_delay_alu instid0(SALU_CYCLE_1)
	v_mov_b32_e32 v8, s19
	global_wb scope:SCOPE_SYS
	s_wait_loadcnt 0x0
	s_wait_storecnt 0x0
	global_atomic_add_u64 v[4:5], v[8:9], off offset:8 scope:SCOPE_SYS
.LBB6_310:                              ;   in Loop: Header=BB6_247 Depth=1
	s_wait_xcnt 0x0
	s_or_b32 exec_lo, exec_lo, s18
	s_wait_loadcnt 0x0
	global_load_b64 v[6:7], v[4:5], off offset:16
	s_wait_loadcnt 0x0
	v_cmp_eq_u64_e32 vcc_lo, 0, v[6:7]
	s_cbranch_vccnz .LBB6_312
; %bb.311:                              ;   in Loop: Header=BB6_247 Depth=1
	global_load_b32 v8, v[4:5], off offset:24
	s_wait_loadcnt 0x0
	v_readfirstlane_b32 s18, v8
	global_wb scope:SCOPE_SYS
	s_wait_storecnt 0x0
	s_wait_xcnt 0x0
	global_store_b64 v[6:7], v[8:9], off scope:SCOPE_SYS
	s_and_b32 m0, s18, 0xffffff
	s_sendmsg sendmsg(MSG_INTERRUPT)
.LBB6_312:                              ;   in Loop: Header=BB6_247 Depth=1
	s_wait_xcnt 0x0
	s_or_b32 exec_lo, exec_lo, s3
	v_mov_b32_e32 v1, v9
	s_delay_alu instid0(VALU_DEP_1)
	v_add_nc_u64_e32 v[4:5], v[26:27], v[0:1]
	s_branch .LBB6_316
.LBB6_313:                              ;   in Loop: Header=BB6_316 Depth=2
	s_wait_xcnt 0x0
	s_or_b32 exec_lo, exec_lo, s3
	s_delay_alu instid0(VALU_DEP_1)
	v_readfirstlane_b32 s3, v1
	s_cmp_eq_u32 s3, 0
	s_cbranch_scc1 .LBB6_315
; %bb.314:                              ;   in Loop: Header=BB6_316 Depth=2
	s_sleep 1
	s_cbranch_execnz .LBB6_316
	s_branch .LBB6_318
.LBB6_315:                              ;   in Loop: Header=BB6_247 Depth=1
	s_branch .LBB6_318
.LBB6_316:                              ;   Parent Loop BB6_247 Depth=1
                                        ; =>  This Inner Loop Header: Depth=2
	v_mov_b32_e32 v1, 1
	s_and_saveexec_b32 s3, s2
	s_cbranch_execz .LBB6_313
; %bb.317:                              ;   in Loop: Header=BB6_316 Depth=2
	global_load_b32 v1, v[32:33], off offset:20 scope:SCOPE_SYS
	s_wait_loadcnt 0x0
	global_inv scope:SCOPE_SYS
	v_and_b32_e32 v1, 1, v1
	s_branch .LBB6_313
.LBB6_318:                              ;   in Loop: Header=BB6_247 Depth=1
	global_load_b64 v[4:5], v[4:5], off
	s_wait_xcnt 0x0
	s_and_saveexec_b32 s18, s2
	s_cbranch_execz .LBB6_246
; %bb.319:                              ;   in Loop: Header=BB6_247 Depth=1
	s_clause 0x2
	global_load_b64 v[6:7], v9, s[8:9] offset:40
	global_load_b64 v[16:17], v9, s[8:9] offset:24 scope:SCOPE_SYS
	global_load_b64 v[12:13], v9, s[8:9]
	s_wait_loadcnt 0x2
	v_readfirstlane_b32 s20, v6
	v_readfirstlane_b32 s21, v7
	s_add_nc_u64 s[2:3], s[20:21], 1
	s_delay_alu instid0(SALU_CYCLE_1) | instskip(NEXT) | instid1(SALU_CYCLE_1)
	s_add_nc_u64 s[16:17], s[2:3], s[16:17]
	s_cmp_eq_u64 s[16:17], 0
	s_cselect_b32 s3, s3, s17
	s_cselect_b32 s2, s2, s16
	s_delay_alu instid0(SALU_CYCLE_1) | instskip(SKIP_1) | instid1(SALU_CYCLE_1)
	v_dual_mov_b32 v15, s3 :: v_dual_mov_b32 v14, s2
	s_and_b64 s[16:17], s[2:3], s[20:21]
	s_mul_u64 s[16:17], s[16:17], 24
	s_wait_loadcnt 0x0
	v_add_nc_u64_e32 v[6:7], s[16:17], v[12:13]
	global_store_b64 v[6:7], v[16:17], off
	global_wb scope:SCOPE_SYS
	s_wait_storecnt 0x0
	s_wait_xcnt 0x0
	global_atomic_cmpswap_b64 v[14:15], v9, v[14:17], s[8:9] offset:24 th:TH_ATOMIC_RETURN scope:SCOPE_SYS
	s_wait_loadcnt 0x0
	v_cmp_ne_u64_e32 vcc_lo, v[14:15], v[16:17]
	s_and_b32 exec_lo, exec_lo, vcc_lo
	s_cbranch_execz .LBB6_246
; %bb.320:                              ;   in Loop: Header=BB6_247 Depth=1
	s_mov_b32 s16, 0
.LBB6_321:                              ;   Parent Loop BB6_247 Depth=1
                                        ; =>  This Inner Loop Header: Depth=2
	v_dual_mov_b32 v12, s2 :: v_dual_mov_b32 v13, s3
	s_sleep 1
	global_store_b64 v[6:7], v[14:15], off
	global_wb scope:SCOPE_SYS
	s_wait_storecnt 0x0
	s_wait_xcnt 0x0
	global_atomic_cmpswap_b64 v[12:13], v9, v[12:15], s[8:9] offset:24 th:TH_ATOMIC_RETURN scope:SCOPE_SYS
	s_wait_loadcnt 0x0
	v_cmp_eq_u64_e32 vcc_lo, v[12:13], v[14:15]
	v_mov_b64_e32 v[14:15], v[12:13]
	s_or_b32 s16, vcc_lo, s16
	s_delay_alu instid0(SALU_CYCLE_1)
	s_and_not1_b32 exec_lo, exec_lo, s16
	s_cbranch_execnz .LBB6_321
	s_branch .LBB6_246
.LBB6_322:
	s_branch .LBB6_351
.LBB6_323:
                                        ; implicit-def: $vgpr4_vgpr5
	s_cbranch_execz .LBB6_351
; %bb.324:
	v_readfirstlane_b32 s2, v29
	s_wait_loadcnt 0x0
	v_mov_b64_e32 v[4:5], 0
	s_delay_alu instid0(VALU_DEP_2)
	v_cmp_eq_u32_e64 s2, s2, v29
	s_and_saveexec_b32 s3, s2
	s_cbranch_execz .LBB6_330
; %bb.325:
	v_mov_b32_e32 v1, 0
	s_mov_b32 s10, exec_lo
	global_load_b64 v[6:7], v1, s[8:9] offset:24 scope:SCOPE_SYS
	s_wait_loadcnt 0x0
	global_inv scope:SCOPE_SYS
	s_clause 0x1
	global_load_b64 v[4:5], v1, s[8:9] offset:40
	global_load_b64 v[8:9], v1, s[8:9]
	s_wait_loadcnt 0x1
	v_and_b32_e32 v4, v4, v6
	v_and_b32_e32 v5, v5, v7
	s_delay_alu instid0(VALU_DEP_1) | instskip(SKIP_1) | instid1(VALU_DEP_1)
	v_mul_u64_e32 v[4:5], 24, v[4:5]
	s_wait_loadcnt 0x0
	v_add_nc_u64_e32 v[4:5], v[8:9], v[4:5]
	global_load_b64 v[4:5], v[4:5], off scope:SCOPE_SYS
	s_wait_xcnt 0x0
	s_wait_loadcnt 0x0
	global_atomic_cmpswap_b64 v[4:5], v1, v[4:7], s[8:9] offset:24 th:TH_ATOMIC_RETURN scope:SCOPE_SYS
	s_wait_loadcnt 0x0
	global_inv scope:SCOPE_SYS
	s_wait_xcnt 0x0
	v_cmpx_ne_u64_e64 v[4:5], v[6:7]
	s_cbranch_execz .LBB6_329
; %bb.326:
	s_mov_b32 s11, 0
.LBB6_327:                              ; =>This Inner Loop Header: Depth=1
	s_sleep 1
	s_clause 0x1
	global_load_b64 v[8:9], v1, s[8:9] offset:40
	global_load_b64 v[10:11], v1, s[8:9]
	v_mov_b64_e32 v[6:7], v[4:5]
	s_wait_loadcnt 0x1
	s_delay_alu instid0(VALU_DEP_1) | instskip(NEXT) | instid1(VALU_DEP_2)
	v_and_b32_e32 v4, v8, v6
	v_and_b32_e32 v8, v9, v7
	s_wait_loadcnt 0x0
	s_delay_alu instid0(VALU_DEP_2) | instskip(NEXT) | instid1(VALU_DEP_1)
	v_mad_nc_u64_u32 v[4:5], v4, 24, v[10:11]
	v_mad_u32 v5, v8, 24, v5
	global_load_b64 v[4:5], v[4:5], off scope:SCOPE_SYS
	s_wait_xcnt 0x0
	s_wait_loadcnt 0x0
	global_atomic_cmpswap_b64 v[4:5], v1, v[4:7], s[8:9] offset:24 th:TH_ATOMIC_RETURN scope:SCOPE_SYS
	s_wait_loadcnt 0x0
	global_inv scope:SCOPE_SYS
	v_cmp_eq_u64_e32 vcc_lo, v[4:5], v[6:7]
	s_or_b32 s11, vcc_lo, s11
	s_wait_xcnt 0x0
	s_and_not1_b32 exec_lo, exec_lo, s11
	s_cbranch_execnz .LBB6_327
; %bb.328:
	s_or_b32 exec_lo, exec_lo, s11
.LBB6_329:
	s_delay_alu instid0(SALU_CYCLE_1)
	s_or_b32 exec_lo, exec_lo, s10
.LBB6_330:
	s_delay_alu instid0(SALU_CYCLE_1)
	s_or_b32 exec_lo, exec_lo, s3
	v_readfirstlane_b32 s10, v4
	v_mov_b32_e32 v1, 0
	v_readfirstlane_b32 s11, v5
	s_mov_b32 s3, exec_lo
	s_clause 0x1
	global_load_b64 v[10:11], v1, s[8:9] offset:40
	global_load_b128 v[6:9], v1, s[8:9]
	s_wait_loadcnt 0x1
	v_and_b32_e32 v4, s10, v10
	v_and_b32_e32 v5, s11, v11
	s_delay_alu instid0(VALU_DEP_1) | instskip(SKIP_1) | instid1(VALU_DEP_1)
	v_mul_u64_e32 v[10:11], 24, v[4:5]
	s_wait_loadcnt 0x0
	v_add_nc_u64_e32 v[10:11], v[6:7], v[10:11]
	s_wait_xcnt 0x0
	s_and_saveexec_b32 s12, s2
	s_cbranch_execz .LBB6_332
; %bb.331:
	v_mov_b64_e32 v[14:15], 0x100000002
	v_dual_mov_b32 v12, s3 :: v_dual_mov_b32 v13, v1
	global_store_b128 v[10:11], v[12:15], off offset:8
.LBB6_332:
	s_wait_xcnt 0x0
	s_or_b32 exec_lo, exec_lo, s12
	v_lshlrev_b64_e32 v[4:5], 12, v[4:5]
	s_mov_b32 s12, 0
	v_and_or_b32 v2, 0xffffff1f, v2, 32
	s_mov_b32 s13, s12
	s_mov_b32 s14, s12
	;; [unrolled: 1-line block ×3, first 2 shown]
	v_mov_b64_e32 v[12:13], s[12:13]
	v_add_nc_u64_e32 v[8:9], v[8:9], v[4:5]
	v_mov_b64_e32 v[14:15], s[14:15]
	v_dual_mov_b32 v4, v1 :: v_dual_mov_b32 v5, v1
	s_delay_alu instid0(VALU_DEP_3) | instskip(NEXT) | instid1(VALU_DEP_4)
	v_readfirstlane_b32 s16, v8
	v_readfirstlane_b32 s17, v9
	s_clause 0x3
	global_store_b128 v0, v[2:5], s[16:17]
	global_store_b128 v0, v[12:15], s[16:17] offset:16
	global_store_b128 v0, v[12:15], s[16:17] offset:32
	;; [unrolled: 1-line block ×3, first 2 shown]
	s_wait_xcnt 0x0
	s_and_saveexec_b32 s3, s2
	s_cbranch_execz .LBB6_340
; %bb.333:
	v_dual_mov_b32 v12, 0 :: v_dual_mov_b32 v15, s11
	s_mov_b32 s12, exec_lo
	s_clause 0x1
	global_load_b64 v[16:17], v12, s[8:9] offset:32 scope:SCOPE_SYS
	global_load_b64 v[2:3], v12, s[8:9] offset:40
	s_wait_loadcnt 0x0
	v_dual_mov_b32 v14, s10 :: v_dual_bitop2_b32 v3, s11, v3 bitop3:0x40
	v_and_b32_e32 v2, s10, v2
	s_delay_alu instid0(VALU_DEP_1) | instskip(NEXT) | instid1(VALU_DEP_1)
	v_mul_u64_e32 v[2:3], 24, v[2:3]
	v_add_nc_u64_e32 v[6:7], v[6:7], v[2:3]
	global_store_b64 v[6:7], v[16:17], off
	global_wb scope:SCOPE_SYS
	s_wait_storecnt 0x0
	s_wait_xcnt 0x0
	global_atomic_cmpswap_b64 v[4:5], v12, v[14:17], s[8:9] offset:32 th:TH_ATOMIC_RETURN scope:SCOPE_SYS
	s_wait_loadcnt 0x0
	v_cmpx_ne_u64_e64 v[4:5], v[16:17]
	s_cbranch_execz .LBB6_336
; %bb.334:
	s_mov_b32 s13, 0
.LBB6_335:                              ; =>This Inner Loop Header: Depth=1
	v_dual_mov_b32 v2, s10 :: v_dual_mov_b32 v3, s11
	s_sleep 1
	global_store_b64 v[6:7], v[4:5], off
	global_wb scope:SCOPE_SYS
	s_wait_storecnt 0x0
	s_wait_xcnt 0x0
	global_atomic_cmpswap_b64 v[2:3], v12, v[2:5], s[8:9] offset:32 th:TH_ATOMIC_RETURN scope:SCOPE_SYS
	s_wait_loadcnt 0x0
	v_cmp_eq_u64_e32 vcc_lo, v[2:3], v[4:5]
	v_mov_b64_e32 v[4:5], v[2:3]
	s_or_b32 s13, vcc_lo, s13
	s_delay_alu instid0(SALU_CYCLE_1)
	s_and_not1_b32 exec_lo, exec_lo, s13
	s_cbranch_execnz .LBB6_335
.LBB6_336:
	s_or_b32 exec_lo, exec_lo, s12
	v_mov_b32_e32 v5, 0
	s_mov_b32 s13, exec_lo
	s_mov_b32 s12, exec_lo
	v_mbcnt_lo_u32_b32 v4, s13, 0
	global_load_b64 v[2:3], v5, s[8:9] offset:16
	s_wait_xcnt 0x0
	v_cmpx_eq_u32_e32 0, v4
	s_cbranch_execz .LBB6_338
; %bb.337:
	s_bcnt1_i32_b32 s13, s13
	s_delay_alu instid0(SALU_CYCLE_1)
	v_mov_b32_e32 v4, s13
	global_wb scope:SCOPE_SYS
	s_wait_loadcnt 0x0
	s_wait_storecnt 0x0
	global_atomic_add_u64 v[2:3], v[4:5], off offset:8 scope:SCOPE_SYS
.LBB6_338:
	s_wait_xcnt 0x0
	s_or_b32 exec_lo, exec_lo, s12
	s_wait_loadcnt 0x0
	global_load_b64 v[4:5], v[2:3], off offset:16
	s_wait_loadcnt 0x0
	v_cmp_eq_u64_e32 vcc_lo, 0, v[4:5]
	s_cbranch_vccnz .LBB6_340
; %bb.339:
	global_load_b32 v2, v[2:3], off offset:24
	s_wait_xcnt 0x0
	v_mov_b32_e32 v3, 0
	s_wait_loadcnt 0x0
	v_readfirstlane_b32 s12, v2
	global_wb scope:SCOPE_SYS
	s_wait_storecnt 0x0
	global_store_b64 v[4:5], v[2:3], off scope:SCOPE_SYS
	s_and_b32 m0, s12, 0xffffff
	s_sendmsg sendmsg(MSG_INTERRUPT)
.LBB6_340:
	s_wait_xcnt 0x0
	s_or_b32 exec_lo, exec_lo, s3
	v_add_nc_u64_e32 v[2:3], v[8:9], v[0:1]
	s_branch .LBB6_344
.LBB6_341:                              ;   in Loop: Header=BB6_344 Depth=1
	s_wait_xcnt 0x0
	s_or_b32 exec_lo, exec_lo, s3
	s_delay_alu instid0(VALU_DEP_1)
	v_readfirstlane_b32 s3, v1
	s_cmp_eq_u32 s3, 0
	s_cbranch_scc1 .LBB6_343
; %bb.342:                              ;   in Loop: Header=BB6_344 Depth=1
	s_sleep 1
	s_cbranch_execnz .LBB6_344
	s_branch .LBB6_346
.LBB6_343:
	s_branch .LBB6_346
.LBB6_344:                              ; =>This Inner Loop Header: Depth=1
	v_mov_b32_e32 v1, 1
	s_and_saveexec_b32 s3, s2
	s_cbranch_execz .LBB6_341
; %bb.345:                              ;   in Loop: Header=BB6_344 Depth=1
	global_load_b32 v1, v[10:11], off offset:20 scope:SCOPE_SYS
	s_wait_loadcnt 0x0
	global_inv scope:SCOPE_SYS
	v_and_b32_e32 v1, 1, v1
	s_branch .LBB6_341
.LBB6_346:
	global_load_b64 v[4:5], v[2:3], off
	s_wait_xcnt 0x0
	s_and_saveexec_b32 s12, s2
	s_cbranch_execz .LBB6_350
; %bb.347:
	v_mov_b32_e32 v1, 0
	s_clause 0x2
	global_load_b64 v[2:3], v1, s[8:9] offset:40
	global_load_b64 v[10:11], v1, s[8:9] offset:24 scope:SCOPE_SYS
	global_load_b64 v[6:7], v1, s[8:9]
	s_wait_loadcnt 0x2
	v_readfirstlane_b32 s14, v2
	v_readfirstlane_b32 s15, v3
	s_add_nc_u64 s[2:3], s[14:15], 1
	s_delay_alu instid0(SALU_CYCLE_1) | instskip(NEXT) | instid1(SALU_CYCLE_1)
	s_add_nc_u64 s[10:11], s[2:3], s[10:11]
	s_cmp_eq_u64 s[10:11], 0
	s_cselect_b32 s3, s3, s11
	s_cselect_b32 s2, s2, s10
	v_mov_b32_e32 v9, s3
	s_and_b64 s[10:11], s[2:3], s[14:15]
	v_mov_b32_e32 v8, s2
	s_mul_u64 s[10:11], s[10:11], 24
	s_wait_loadcnt 0x0
	v_add_nc_u64_e32 v[2:3], s[10:11], v[6:7]
	global_store_b64 v[2:3], v[10:11], off
	global_wb scope:SCOPE_SYS
	s_wait_storecnt 0x0
	s_wait_xcnt 0x0
	global_atomic_cmpswap_b64 v[8:9], v1, v[8:11], s[8:9] offset:24 th:TH_ATOMIC_RETURN scope:SCOPE_SYS
	s_wait_loadcnt 0x0
	v_cmp_ne_u64_e32 vcc_lo, v[8:9], v[10:11]
	s_and_b32 exec_lo, exec_lo, vcc_lo
	s_cbranch_execz .LBB6_350
; %bb.348:
	s_mov_b32 s10, 0
.LBB6_349:                              ; =>This Inner Loop Header: Depth=1
	v_dual_mov_b32 v6, s2 :: v_dual_mov_b32 v7, s3
	s_sleep 1
	global_store_b64 v[2:3], v[8:9], off
	global_wb scope:SCOPE_SYS
	s_wait_storecnt 0x0
	s_wait_xcnt 0x0
	global_atomic_cmpswap_b64 v[6:7], v1, v[6:9], s[8:9] offset:24 th:TH_ATOMIC_RETURN scope:SCOPE_SYS
	s_wait_loadcnt 0x0
	v_cmp_eq_u64_e32 vcc_lo, v[6:7], v[8:9]
	v_mov_b64_e32 v[8:9], v[6:7]
	s_or_b32 s10, vcc_lo, s10
	s_delay_alu instid0(SALU_CYCLE_1)
	s_and_not1_b32 exec_lo, exec_lo, s10
	s_cbranch_execnz .LBB6_349
.LBB6_350:
	s_or_b32 exec_lo, exec_lo, s12
.LBB6_351:
	v_readfirstlane_b32 s2, v29
	s_wait_loadcnt 0x0
	v_mov_b64_e32 v[2:3], 0
	s_delay_alu instid0(VALU_DEP_2)
	v_cmp_eq_u32_e64 s2, s2, v29
	s_and_saveexec_b32 s3, s2
	s_cbranch_execz .LBB6_357
; %bb.352:
	v_mov_b32_e32 v1, 0
	s_mov_b32 s10, exec_lo
	global_load_b64 v[8:9], v1, s[8:9] offset:24 scope:SCOPE_SYS
	s_wait_loadcnt 0x0
	global_inv scope:SCOPE_SYS
	s_clause 0x1
	global_load_b64 v[2:3], v1, s[8:9] offset:40
	global_load_b64 v[6:7], v1, s[8:9]
	s_wait_loadcnt 0x1
	v_and_b32_e32 v2, v2, v8
	v_and_b32_e32 v3, v3, v9
	s_delay_alu instid0(VALU_DEP_1) | instskip(SKIP_1) | instid1(VALU_DEP_1)
	v_mul_u64_e32 v[2:3], 24, v[2:3]
	s_wait_loadcnt 0x0
	v_add_nc_u64_e32 v[2:3], v[6:7], v[2:3]
	global_load_b64 v[6:7], v[2:3], off scope:SCOPE_SYS
	s_wait_xcnt 0x0
	s_wait_loadcnt 0x0
	global_atomic_cmpswap_b64 v[2:3], v1, v[6:9], s[8:9] offset:24 th:TH_ATOMIC_RETURN scope:SCOPE_SYS
	s_wait_loadcnt 0x0
	global_inv scope:SCOPE_SYS
	s_wait_xcnt 0x0
	v_cmpx_ne_u64_e64 v[2:3], v[8:9]
	s_cbranch_execz .LBB6_356
; %bb.353:
	s_mov_b32 s11, 0
.LBB6_354:                              ; =>This Inner Loop Header: Depth=1
	s_sleep 1
	s_clause 0x1
	global_load_b64 v[6:7], v1, s[8:9] offset:40
	global_load_b64 v[10:11], v1, s[8:9]
	v_mov_b64_e32 v[8:9], v[2:3]
	s_wait_loadcnt 0x1
	s_delay_alu instid0(VALU_DEP_1) | instskip(NEXT) | instid1(VALU_DEP_2)
	v_and_b32_e32 v2, v6, v8
	v_and_b32_e32 v6, v7, v9
	s_wait_loadcnt 0x0
	s_delay_alu instid0(VALU_DEP_2) | instskip(NEXT) | instid1(VALU_DEP_1)
	v_mad_nc_u64_u32 v[2:3], v2, 24, v[10:11]
	v_mad_u32 v3, v6, 24, v3
	global_load_b64 v[6:7], v[2:3], off scope:SCOPE_SYS
	s_wait_xcnt 0x0
	s_wait_loadcnt 0x0
	global_atomic_cmpswap_b64 v[2:3], v1, v[6:9], s[8:9] offset:24 th:TH_ATOMIC_RETURN scope:SCOPE_SYS
	s_wait_loadcnt 0x0
	global_inv scope:SCOPE_SYS
	v_cmp_eq_u64_e32 vcc_lo, v[2:3], v[8:9]
	s_or_b32 s11, vcc_lo, s11
	s_wait_xcnt 0x0
	s_and_not1_b32 exec_lo, exec_lo, s11
	s_cbranch_execnz .LBB6_354
; %bb.355:
	s_or_b32 exec_lo, exec_lo, s11
.LBB6_356:
	s_delay_alu instid0(SALU_CYCLE_1)
	s_or_b32 exec_lo, exec_lo, s10
.LBB6_357:
	s_delay_alu instid0(SALU_CYCLE_1)
	s_or_b32 exec_lo, exec_lo, s3
	v_readfirstlane_b32 s10, v2
	v_mov_b32_e32 v1, 0
	v_readfirstlane_b32 s11, v3
	s_mov_b32 s3, exec_lo
	s_clause 0x1
	global_load_b64 v[6:7], v1, s[8:9] offset:40
	global_load_b128 v[8:11], v1, s[8:9]
	s_wait_loadcnt 0x1
	v_and_b32_e32 v2, s10, v6
	v_and_b32_e32 v3, s11, v7
	s_delay_alu instid0(VALU_DEP_1) | instskip(SKIP_1) | instid1(VALU_DEP_1)
	v_mul_u64_e32 v[6:7], 24, v[2:3]
	s_wait_loadcnt 0x0
	v_add_nc_u64_e32 v[12:13], v[8:9], v[6:7]
	s_wait_xcnt 0x0
	s_and_saveexec_b32 s12, s2
	s_cbranch_execz .LBB6_359
; %bb.358:
	v_mov_b64_e32 v[16:17], 0x100000002
	v_dual_mov_b32 v14, s3 :: v_dual_mov_b32 v15, v1
	global_store_b128 v[12:13], v[14:17], off offset:8
.LBB6_359:
	s_wait_xcnt 0x0
	s_or_b32 exec_lo, exec_lo, s12
	v_lshlrev_b64_e32 v[2:3], 12, v[2:3]
	s_mov_b32 s12, 0
	s_lshr_b32 s3, s22, 5
	s_mov_b32 s14, s12
	s_mov_b32 s15, s12
	;; [unrolled: 1-line block ×3, first 2 shown]
	v_mov_b64_e32 v[16:17], s[14:15]
	v_add_nc_u64_e32 v[10:11], v[10:11], v[2:3]
	v_mov_b64_e32 v[14:15], s[12:13]
	v_and_or_b32 v4, 0xffffff1f, v4, 32
	v_dual_mov_b32 v7, v1 :: v_dual_mov_b32 v6, s3
	s_delay_alu instid0(VALU_DEP_4)
	v_readfirstlane_b32 s16, v10
	v_readfirstlane_b32 s17, v11
	s_clause 0x3
	global_store_b128 v0, v[4:7], s[16:17]
	global_store_b128 v0, v[14:17], s[16:17] offset:16
	global_store_b128 v0, v[14:17], s[16:17] offset:32
	;; [unrolled: 1-line block ×3, first 2 shown]
	s_wait_xcnt 0x0
	s_and_saveexec_b32 s3, s2
	s_cbranch_execz .LBB6_367
; %bb.360:
	v_dual_mov_b32 v14, 0 :: v_dual_mov_b32 v17, s11
	s_mov_b32 s12, exec_lo
	s_clause 0x1
	global_load_b64 v[18:19], v14, s[8:9] offset:32 scope:SCOPE_SYS
	global_load_b64 v[2:3], v14, s[8:9] offset:40
	s_wait_loadcnt 0x0
	v_dual_mov_b32 v16, s10 :: v_dual_bitop2_b32 v3, s11, v3 bitop3:0x40
	v_and_b32_e32 v2, s10, v2
	s_delay_alu instid0(VALU_DEP_1) | instskip(NEXT) | instid1(VALU_DEP_1)
	v_mul_u64_e32 v[2:3], 24, v[2:3]
	v_add_nc_u64_e32 v[6:7], v[8:9], v[2:3]
	global_store_b64 v[6:7], v[18:19], off
	global_wb scope:SCOPE_SYS
	s_wait_storecnt 0x0
	s_wait_xcnt 0x0
	global_atomic_cmpswap_b64 v[4:5], v14, v[16:19], s[8:9] offset:32 th:TH_ATOMIC_RETURN scope:SCOPE_SYS
	s_wait_loadcnt 0x0
	v_cmpx_ne_u64_e64 v[4:5], v[18:19]
	s_cbranch_execz .LBB6_363
; %bb.361:
	s_mov_b32 s13, 0
.LBB6_362:                              ; =>This Inner Loop Header: Depth=1
	v_dual_mov_b32 v2, s10 :: v_dual_mov_b32 v3, s11
	s_sleep 1
	global_store_b64 v[6:7], v[4:5], off
	global_wb scope:SCOPE_SYS
	s_wait_storecnt 0x0
	s_wait_xcnt 0x0
	global_atomic_cmpswap_b64 v[2:3], v14, v[2:5], s[8:9] offset:32 th:TH_ATOMIC_RETURN scope:SCOPE_SYS
	s_wait_loadcnt 0x0
	v_cmp_eq_u64_e32 vcc_lo, v[2:3], v[4:5]
	v_mov_b64_e32 v[4:5], v[2:3]
	s_or_b32 s13, vcc_lo, s13
	s_delay_alu instid0(SALU_CYCLE_1)
	s_and_not1_b32 exec_lo, exec_lo, s13
	s_cbranch_execnz .LBB6_362
.LBB6_363:
	s_or_b32 exec_lo, exec_lo, s12
	v_mov_b32_e32 v5, 0
	s_mov_b32 s13, exec_lo
	s_mov_b32 s12, exec_lo
	v_mbcnt_lo_u32_b32 v4, s13, 0
	global_load_b64 v[2:3], v5, s[8:9] offset:16
	s_wait_xcnt 0x0
	v_cmpx_eq_u32_e32 0, v4
	s_cbranch_execz .LBB6_365
; %bb.364:
	s_bcnt1_i32_b32 s13, s13
	s_delay_alu instid0(SALU_CYCLE_1)
	v_mov_b32_e32 v4, s13
	global_wb scope:SCOPE_SYS
	s_wait_loadcnt 0x0
	s_wait_storecnt 0x0
	global_atomic_add_u64 v[2:3], v[4:5], off offset:8 scope:SCOPE_SYS
.LBB6_365:
	s_wait_xcnt 0x0
	s_or_b32 exec_lo, exec_lo, s12
	s_wait_loadcnt 0x0
	global_load_b64 v[4:5], v[2:3], off offset:16
	s_wait_loadcnt 0x0
	v_cmp_eq_u64_e32 vcc_lo, 0, v[4:5]
	s_cbranch_vccnz .LBB6_367
; %bb.366:
	global_load_b32 v2, v[2:3], off offset:24
	s_wait_xcnt 0x0
	v_mov_b32_e32 v3, 0
	s_wait_loadcnt 0x0
	v_readfirstlane_b32 s12, v2
	global_wb scope:SCOPE_SYS
	s_wait_storecnt 0x0
	global_store_b64 v[4:5], v[2:3], off scope:SCOPE_SYS
	s_and_b32 m0, s12, 0xffffff
	s_sendmsg sendmsg(MSG_INTERRUPT)
.LBB6_367:
	s_wait_xcnt 0x0
	s_or_b32 exec_lo, exec_lo, s3
	v_add_nc_u64_e32 v[2:3], v[10:11], v[0:1]
	s_branch .LBB6_371
.LBB6_368:                              ;   in Loop: Header=BB6_371 Depth=1
	s_wait_xcnt 0x0
	s_or_b32 exec_lo, exec_lo, s3
	s_delay_alu instid0(VALU_DEP_1)
	v_readfirstlane_b32 s3, v1
	s_cmp_eq_u32 s3, 0
	s_cbranch_scc1 .LBB6_370
; %bb.369:                              ;   in Loop: Header=BB6_371 Depth=1
	s_sleep 1
	s_cbranch_execnz .LBB6_371
	s_branch .LBB6_373
.LBB6_370:
	s_branch .LBB6_373
.LBB6_371:                              ; =>This Inner Loop Header: Depth=1
	v_mov_b32_e32 v1, 1
	s_and_saveexec_b32 s3, s2
	s_cbranch_execz .LBB6_368
; %bb.372:                              ;   in Loop: Header=BB6_371 Depth=1
	global_load_b32 v1, v[12:13], off offset:20 scope:SCOPE_SYS
	s_wait_loadcnt 0x0
	global_inv scope:SCOPE_SYS
	v_and_b32_e32 v1, 1, v1
	s_branch .LBB6_368
.LBB6_373:
	global_load_b64 v[2:3], v[2:3], off
	s_wait_xcnt 0x0
	s_and_saveexec_b32 s12, s2
	s_cbranch_execz .LBB6_377
; %bb.374:
	v_mov_b32_e32 v1, 0
	s_clause 0x2
	global_load_b64 v[4:5], v1, s[8:9] offset:40
	global_load_b64 v[12:13], v1, s[8:9] offset:24 scope:SCOPE_SYS
	global_load_b64 v[6:7], v1, s[8:9]
	s_wait_loadcnt 0x2
	v_readfirstlane_b32 s14, v4
	v_readfirstlane_b32 s15, v5
	s_add_nc_u64 s[2:3], s[14:15], 1
	s_delay_alu instid0(SALU_CYCLE_1) | instskip(NEXT) | instid1(SALU_CYCLE_1)
	s_add_nc_u64 s[10:11], s[2:3], s[10:11]
	s_cmp_eq_u64 s[10:11], 0
	s_cselect_b32 s3, s3, s11
	s_cselect_b32 s2, s2, s10
	v_mov_b32_e32 v11, s3
	s_and_b64 s[10:11], s[2:3], s[14:15]
	v_mov_b32_e32 v10, s2
	s_mul_u64 s[10:11], s[10:11], 24
	s_wait_loadcnt 0x0
	v_add_nc_u64_e32 v[8:9], s[10:11], v[6:7]
	global_store_b64 v[8:9], v[12:13], off
	global_wb scope:SCOPE_SYS
	s_wait_storecnt 0x0
	s_wait_xcnt 0x0
	global_atomic_cmpswap_b64 v[6:7], v1, v[10:13], s[8:9] offset:24 th:TH_ATOMIC_RETURN scope:SCOPE_SYS
	s_wait_loadcnt 0x0
	v_cmp_ne_u64_e32 vcc_lo, v[6:7], v[12:13]
	s_and_b32 exec_lo, exec_lo, vcc_lo
	s_cbranch_execz .LBB6_377
; %bb.375:
	s_mov_b32 s10, 0
.LBB6_376:                              ; =>This Inner Loop Header: Depth=1
	v_dual_mov_b32 v4, s2 :: v_dual_mov_b32 v5, s3
	s_sleep 1
	global_store_b64 v[8:9], v[6:7], off
	global_wb scope:SCOPE_SYS
	s_wait_storecnt 0x0
	s_wait_xcnt 0x0
	global_atomic_cmpswap_b64 v[4:5], v1, v[4:7], s[8:9] offset:24 th:TH_ATOMIC_RETURN scope:SCOPE_SYS
	s_wait_loadcnt 0x0
	v_cmp_eq_u64_e32 vcc_lo, v[4:5], v[6:7]
	v_mov_b64_e32 v[6:7], v[4:5]
	s_or_b32 s10, vcc_lo, s10
	s_delay_alu instid0(SALU_CYCLE_1)
	s_and_not1_b32 exec_lo, exec_lo, s10
	s_cbranch_execnz .LBB6_376
.LBB6_377:
	s_or_b32 exec_lo, exec_lo, s12
	v_readfirstlane_b32 s2, v29
	v_mov_b64_e32 v[10:11], 0
	s_delay_alu instid0(VALU_DEP_2)
	v_cmp_eq_u32_e64 s2, s2, v29
	s_and_saveexec_b32 s3, s2
	s_cbranch_execz .LBB6_383
; %bb.378:
	v_mov_b32_e32 v1, 0
	s_mov_b32 s10, exec_lo
	global_load_b64 v[6:7], v1, s[8:9] offset:24 scope:SCOPE_SYS
	s_wait_loadcnt 0x0
	global_inv scope:SCOPE_SYS
	s_clause 0x1
	global_load_b64 v[4:5], v1, s[8:9] offset:40
	global_load_b64 v[8:9], v1, s[8:9]
	s_wait_loadcnt 0x1
	v_and_b32_e32 v4, v4, v6
	v_and_b32_e32 v5, v5, v7
	s_delay_alu instid0(VALU_DEP_1) | instskip(SKIP_1) | instid1(VALU_DEP_1)
	v_mul_u64_e32 v[4:5], 24, v[4:5]
	s_wait_loadcnt 0x0
	v_add_nc_u64_e32 v[4:5], v[8:9], v[4:5]
	global_load_b64 v[4:5], v[4:5], off scope:SCOPE_SYS
	s_wait_xcnt 0x0
	s_wait_loadcnt 0x0
	global_atomic_cmpswap_b64 v[10:11], v1, v[4:7], s[8:9] offset:24 th:TH_ATOMIC_RETURN scope:SCOPE_SYS
	s_wait_loadcnt 0x0
	global_inv scope:SCOPE_SYS
	s_wait_xcnt 0x0
	v_cmpx_ne_u64_e64 v[10:11], v[6:7]
	s_cbranch_execz .LBB6_382
; %bb.379:
	s_mov_b32 s11, 0
.LBB6_380:                              ; =>This Inner Loop Header: Depth=1
	s_sleep 1
	s_clause 0x1
	global_load_b64 v[4:5], v1, s[8:9] offset:40
	global_load_b64 v[8:9], v1, s[8:9]
	v_mov_b64_e32 v[6:7], v[10:11]
	s_wait_loadcnt 0x1
	s_delay_alu instid0(VALU_DEP_1) | instskip(SKIP_1) | instid1(VALU_DEP_1)
	v_and_b32_e32 v4, v4, v6
	s_wait_loadcnt 0x0
	v_mad_nc_u64_u32 v[8:9], v4, 24, v[8:9]
	s_delay_alu instid0(VALU_DEP_3) | instskip(NEXT) | instid1(VALU_DEP_1)
	v_and_b32_e32 v4, v5, v7
	v_mad_u32 v9, v4, 24, v9
	global_load_b64 v[4:5], v[8:9], off scope:SCOPE_SYS
	s_wait_xcnt 0x0
	s_wait_loadcnt 0x0
	global_atomic_cmpswap_b64 v[10:11], v1, v[4:7], s[8:9] offset:24 th:TH_ATOMIC_RETURN scope:SCOPE_SYS
	s_wait_loadcnt 0x0
	global_inv scope:SCOPE_SYS
	v_cmp_eq_u64_e32 vcc_lo, v[10:11], v[6:7]
	s_or_b32 s11, vcc_lo, s11
	s_wait_xcnt 0x0
	s_and_not1_b32 exec_lo, exec_lo, s11
	s_cbranch_execnz .LBB6_380
; %bb.381:
	s_or_b32 exec_lo, exec_lo, s11
.LBB6_382:
	s_delay_alu instid0(SALU_CYCLE_1)
	s_or_b32 exec_lo, exec_lo, s10
.LBB6_383:
	s_delay_alu instid0(SALU_CYCLE_1)
	s_or_b32 exec_lo, exec_lo, s3
	v_readfirstlane_b32 s10, v10
	v_mov_b32_e32 v5, 0
	v_readfirstlane_b32 s11, v11
	s_mov_b32 s3, exec_lo
	s_clause 0x1
	global_load_b64 v[12:13], v5, s[8:9] offset:40
	global_load_b128 v[6:9], v5, s[8:9]
	s_wait_loadcnt 0x1
	v_and_b32_e32 v12, s10, v12
	v_and_b32_e32 v13, s11, v13
	s_delay_alu instid0(VALU_DEP_1) | instskip(SKIP_1) | instid1(VALU_DEP_1)
	v_mul_u64_e32 v[10:11], 24, v[12:13]
	s_wait_loadcnt 0x0
	v_add_nc_u64_e32 v[10:11], v[6:7], v[10:11]
	s_wait_xcnt 0x0
	s_and_saveexec_b32 s12, s2
	s_cbranch_execz .LBB6_385
; %bb.384:
	v_mov_b32_e32 v4, s3
	v_mov_b64_e32 v[16:17], 0x100000002
	s_delay_alu instid0(VALU_DEP_2)
	v_mov_b64_e32 v[14:15], v[4:5]
	global_store_b128 v[10:11], v[14:17], off offset:8
.LBB6_385:
	s_wait_xcnt 0x0
	s_or_b32 exec_lo, exec_lo, s12
	v_lshlrev_b64_e32 v[12:13], 12, v[12:13]
	s_mov_b32 s12, 0
	v_and_or_b32 v2, 0xffffff1d, v2, 34
	s_mov_b32 s13, s12
	s_mov_b32 s14, s12
	;; [unrolled: 1-line block ×3, first 2 shown]
	v_mov_b32_e32 v4, 32
	v_add_nc_u64_e32 v[8:9], v[8:9], v[12:13]
	v_mov_b64_e32 v[12:13], s[12:13]
	v_mov_b64_e32 v[14:15], s[14:15]
	s_delay_alu instid0(VALU_DEP_3) | instskip(NEXT) | instid1(VALU_DEP_4)
	v_readfirstlane_b32 s16, v8
	v_readfirstlane_b32 s17, v9
	s_clause 0x3
	global_store_b128 v0, v[2:5], s[16:17]
	global_store_b128 v0, v[12:15], s[16:17] offset:16
	global_store_b128 v0, v[12:15], s[16:17] offset:32
	;; [unrolled: 1-line block ×3, first 2 shown]
	s_wait_xcnt 0x0
	s_and_saveexec_b32 s3, s2
	s_cbranch_execz .LBB6_393
; %bb.386:
	v_dual_mov_b32 v8, 0 :: v_dual_mov_b32 v13, s11
	s_mov_b32 s12, exec_lo
	s_clause 0x1
	global_load_b64 v[14:15], v8, s[8:9] offset:32 scope:SCOPE_SYS
	global_load_b64 v[0:1], v8, s[8:9] offset:40
	s_wait_loadcnt 0x0
	v_dual_mov_b32 v12, s10 :: v_dual_bitop2_b32 v1, s11, v1 bitop3:0x40
	v_and_b32_e32 v0, s10, v0
	s_delay_alu instid0(VALU_DEP_1) | instskip(NEXT) | instid1(VALU_DEP_1)
	v_mul_u64_e32 v[0:1], 24, v[0:1]
	v_add_nc_u64_e32 v[4:5], v[6:7], v[0:1]
	global_store_b64 v[4:5], v[14:15], off
	global_wb scope:SCOPE_SYS
	s_wait_storecnt 0x0
	s_wait_xcnt 0x0
	global_atomic_cmpswap_b64 v[2:3], v8, v[12:15], s[8:9] offset:32 th:TH_ATOMIC_RETURN scope:SCOPE_SYS
	s_wait_loadcnt 0x0
	v_cmpx_ne_u64_e64 v[2:3], v[14:15]
	s_cbranch_execz .LBB6_389
; %bb.387:
	s_mov_b32 s13, 0
.LBB6_388:                              ; =>This Inner Loop Header: Depth=1
	v_dual_mov_b32 v0, s10 :: v_dual_mov_b32 v1, s11
	s_sleep 1
	global_store_b64 v[4:5], v[2:3], off
	global_wb scope:SCOPE_SYS
	s_wait_storecnt 0x0
	s_wait_xcnt 0x0
	global_atomic_cmpswap_b64 v[0:1], v8, v[0:3], s[8:9] offset:32 th:TH_ATOMIC_RETURN scope:SCOPE_SYS
	s_wait_loadcnt 0x0
	v_cmp_eq_u64_e32 vcc_lo, v[0:1], v[2:3]
	v_mov_b64_e32 v[2:3], v[0:1]
	s_or_b32 s13, vcc_lo, s13
	s_delay_alu instid0(SALU_CYCLE_1)
	s_and_not1_b32 exec_lo, exec_lo, s13
	s_cbranch_execnz .LBB6_388
.LBB6_389:
	s_or_b32 exec_lo, exec_lo, s12
	v_mov_b32_e32 v3, 0
	s_mov_b32 s13, exec_lo
	s_mov_b32 s12, exec_lo
	v_mbcnt_lo_u32_b32 v2, s13, 0
	global_load_b64 v[0:1], v3, s[8:9] offset:16
	s_wait_xcnt 0x0
	v_cmpx_eq_u32_e32 0, v2
	s_cbranch_execz .LBB6_391
; %bb.390:
	s_bcnt1_i32_b32 s13, s13
	s_delay_alu instid0(SALU_CYCLE_1)
	v_mov_b32_e32 v2, s13
	global_wb scope:SCOPE_SYS
	s_wait_loadcnt 0x0
	s_wait_storecnt 0x0
	global_atomic_add_u64 v[0:1], v[2:3], off offset:8 scope:SCOPE_SYS
.LBB6_391:
	s_wait_xcnt 0x0
	s_or_b32 exec_lo, exec_lo, s12
	s_wait_loadcnt 0x0
	global_load_b64 v[2:3], v[0:1], off offset:16
	s_wait_loadcnt 0x0
	v_cmp_eq_u64_e32 vcc_lo, 0, v[2:3]
	s_cbranch_vccnz .LBB6_393
; %bb.392:
	global_load_b32 v0, v[0:1], off offset:24
	s_wait_xcnt 0x0
	v_mov_b32_e32 v1, 0
	s_wait_loadcnt 0x0
	v_readfirstlane_b32 s12, v0
	global_wb scope:SCOPE_SYS
	s_wait_storecnt 0x0
	global_store_b64 v[2:3], v[0:1], off scope:SCOPE_SYS
	s_and_b32 m0, s12, 0xffffff
	s_sendmsg sendmsg(MSG_INTERRUPT)
.LBB6_393:
	s_wait_xcnt 0x0
	s_or_b32 exec_lo, exec_lo, s3
	s_branch .LBB6_397
.LBB6_394:                              ;   in Loop: Header=BB6_397 Depth=1
	s_wait_xcnt 0x0
	s_or_b32 exec_lo, exec_lo, s3
	s_delay_alu instid0(VALU_DEP_1)
	v_readfirstlane_b32 s3, v0
	s_cmp_eq_u32 s3, 0
	s_cbranch_scc1 .LBB6_396
; %bb.395:                              ;   in Loop: Header=BB6_397 Depth=1
	s_sleep 1
	s_cbranch_execnz .LBB6_397
	s_branch .LBB6_399
.LBB6_396:
	s_branch .LBB6_399
.LBB6_397:                              ; =>This Inner Loop Header: Depth=1
	v_mov_b32_e32 v0, 1
	s_and_saveexec_b32 s3, s2
	s_cbranch_execz .LBB6_394
; %bb.398:                              ;   in Loop: Header=BB6_397 Depth=1
	global_load_b32 v0, v[10:11], off offset:20 scope:SCOPE_SYS
	s_wait_loadcnt 0x0
	global_inv scope:SCOPE_SYS
	v_and_b32_e32 v0, 1, v0
	s_branch .LBB6_394
.LBB6_399:
	s_and_b32 exec_lo, exec_lo, s2
	s_cbranch_execz .LBB6_403
; %bb.400:
	v_mov_b32_e32 v6, 0
	s_clause 0x2
	global_load_b64 v[0:1], v6, s[8:9] offset:40
	global_load_b64 v[10:11], v6, s[8:9] offset:24 scope:SCOPE_SYS
	global_load_b64 v[2:3], v6, s[8:9]
	s_wait_loadcnt 0x2
	v_readfirstlane_b32 s12, v0
	v_readfirstlane_b32 s13, v1
	s_add_nc_u64 s[2:3], s[12:13], 1
	s_delay_alu instid0(SALU_CYCLE_1) | instskip(NEXT) | instid1(SALU_CYCLE_1)
	s_add_nc_u64 s[10:11], s[2:3], s[10:11]
	s_cmp_eq_u64 s[10:11], 0
	s_cselect_b32 s3, s3, s11
	s_cselect_b32 s2, s2, s10
	v_mov_b32_e32 v9, s3
	s_and_b64 s[10:11], s[2:3], s[12:13]
	v_mov_b32_e32 v8, s2
	s_mul_u64 s[10:11], s[10:11], 24
	s_wait_loadcnt 0x0
	v_add_nc_u64_e32 v[4:5], s[10:11], v[2:3]
	global_store_b64 v[4:5], v[10:11], off
	global_wb scope:SCOPE_SYS
	s_wait_storecnt 0x0
	s_wait_xcnt 0x0
	global_atomic_cmpswap_b64 v[2:3], v6, v[8:11], s[8:9] offset:24 th:TH_ATOMIC_RETURN scope:SCOPE_SYS
	s_wait_loadcnt 0x0
	v_cmp_ne_u64_e32 vcc_lo, v[2:3], v[10:11]
	s_and_b32 exec_lo, exec_lo, vcc_lo
	s_cbranch_execz .LBB6_403
; %bb.401:
	s_mov_b32 s10, 0
.LBB6_402:                              ; =>This Inner Loop Header: Depth=1
	v_dual_mov_b32 v0, s2 :: v_dual_mov_b32 v1, s3
	s_sleep 1
	global_store_b64 v[4:5], v[2:3], off
	global_wb scope:SCOPE_SYS
	s_wait_storecnt 0x0
	s_wait_xcnt 0x0
	global_atomic_cmpswap_b64 v[0:1], v6, v[0:3], s[8:9] offset:24 th:TH_ATOMIC_RETURN scope:SCOPE_SYS
	s_wait_loadcnt 0x0
	v_cmp_eq_u64_e32 vcc_lo, v[0:1], v[2:3]
	v_mov_b64_e32 v[2:3], v[0:1]
	s_or_b32 s10, vcc_lo, s10
	s_delay_alu instid0(SALU_CYCLE_1)
	s_and_not1_b32 exec_lo, exec_lo, s10
	s_cbranch_execnz .LBB6_402
.LBB6_403:
	s_or_b32 exec_lo, exec_lo, s23
	v_and_b32_e32 v0, 0xffffffe0, v28
	v_dual_mov_b32 v3, 0 :: v_dual_bitop2_b32 v4, 31, v28 bitop3:0x40
	s_mov_b32 s2, exec_lo
	s_wait_loadcnt 0x0
	s_wait_storecnt 0x0
	v_dual_ashrrev_i32 v1, 31, v0 :: v_dual_mov_b32 v31, v28
	v_lshlrev_b32_e32 v2, 2, v4
	s_barrier_signal -1
	s_barrier_wait -1
	s_delay_alu instid0(VALU_DEP_2) | instskip(NEXT) | instid1(VALU_DEP_1)
	v_lshl_add_u64 v[0:1], v[0:1], 2, s[6:7]
	v_add_nc_u64_e32 v[2:3], v[0:1], v[2:3]
	flat_store_b32 v[2:3], v28
	global_wb scope:SCOPE_DEV
	s_wait_storecnt_dscnt 0x0
	global_inv scope:SCOPE_DEV
	s_wait_xcnt 0x0
	v_cmpx_gt_u32_e32 16, v4
	s_cbranch_execz .LBB6_405
; %bb.404:
	flat_load_b32 v5, v[2:3] offset:64
	s_wait_loadcnt_dscnt 0x0
	v_add_nc_u32_e32 v31, v5, v28
.LBB6_405:
	s_or_b32 exec_lo, exec_lo, s2
	s_delay_alu instid0(SALU_CYCLE_1)
	s_mov_b32 s2, exec_lo
	global_wb scope:SCOPE_DEV
	s_wait_loadcnt 0x0
	s_wait_storecnt 0x0
	global_inv scope:SCOPE_DEV
	flat_store_b32 v[2:3], v31
	global_wb scope:SCOPE_DEV
	s_wait_storecnt 0x0
	s_wait_loadcnt_dscnt 0x0
	global_inv scope:SCOPE_DEV
	v_cmpx_gt_u32_e32 8, v4
	s_cbranch_execz .LBB6_407
; %bb.406:
	flat_load_b32 v5, v[2:3] offset:32
	s_wait_loadcnt_dscnt 0x0
	v_add_nc_u32_e32 v31, v5, v31
.LBB6_407:
	s_or_b32 exec_lo, exec_lo, s2
	s_delay_alu instid0(SALU_CYCLE_1)
	s_mov_b32 s2, exec_lo
	global_wb scope:SCOPE_DEV
	s_wait_loadcnt 0x0
	s_wait_storecnt 0x0
	global_inv scope:SCOPE_DEV
	flat_store_b32 v[2:3], v31
	global_wb scope:SCOPE_DEV
	s_wait_storecnt 0x0
	s_wait_loadcnt_dscnt 0x0
	global_inv scope:SCOPE_DEV
	;; [unrolled: 19-line block ×3, first 2 shown]
	v_cmpx_gt_u32_e32 2, v4
	s_cbranch_execz .LBB6_411
; %bb.410:
	flat_load_b32 v5, v[2:3] offset:8
	s_wait_loadcnt_dscnt 0x0
	v_add_nc_u32_e32 v31, v5, v31
.LBB6_411:
	s_or_b32 exec_lo, exec_lo, s2
	v_cmp_eq_u32_e64 s2, 0, v4
	global_wb scope:SCOPE_DEV
	s_wait_loadcnt 0x0
	s_wait_storecnt 0x0
	global_inv scope:SCOPE_DEV
	flat_store_b32 v[2:3], v31
	global_wb scope:SCOPE_DEV
	s_wait_storecnt 0x0
	s_wait_loadcnt_dscnt 0x0
	global_inv scope:SCOPE_DEV
	s_and_saveexec_b32 s3, s2
	s_cbranch_execnz .LBB6_414
; %bb.412:
	s_or_b32 exec_lo, exec_lo, s3
	global_wb scope:SCOPE_DEV
	s_wait_loadcnt 0x0
	s_wait_storecnt 0x0
	global_inv scope:SCOPE_DEV
	s_and_saveexec_b32 s3, s2
	s_cbranch_execnz .LBB6_415
.LBB6_413:
	s_endpgm
.LBB6_414:
	flat_load_b32 v0, v[0:1] offset:4
	s_wait_loadcnt_dscnt 0x0
	v_add_nc_u32_e32 v31, v0, v31
	s_or_b32 exec_lo, exec_lo, s3
	global_wb scope:SCOPE_DEV
	s_wait_storecnt 0x0
	global_inv scope:SCOPE_DEV
	s_and_saveexec_b32 s3, s2
	s_cbranch_execz .LBB6_413
.LBB6_415:
	s_load_b64 s[4:5], s[4:5], 0x50
	v_mbcnt_lo_u32_b32 v29, -1, 0
	v_mov_b64_e32 v[2:3], 0
	s_delay_alu instid0(VALU_DEP_2) | instskip(NEXT) | instid1(VALU_DEP_1)
	v_readfirstlane_b32 s3, v29
	v_cmp_eq_u32_e64 s3, s3, v29
	s_and_saveexec_b32 s6, s3
	s_cbranch_execz .LBB6_421
; %bb.416:
	v_mov_b32_e32 v0, 0
	s_mov_b32 s7, exec_lo
	s_wait_kmcnt 0x0
	global_load_b64 v[4:5], v0, s[4:5] offset:24 scope:SCOPE_SYS
	s_wait_loadcnt 0x0
	global_inv scope:SCOPE_SYS
	s_clause 0x1
	global_load_b64 v[2:3], v0, s[4:5] offset:40
	global_load_b64 v[6:7], v0, s[4:5]
	s_wait_loadcnt 0x1
	v_and_b32_e32 v2, v2, v4
	v_and_b32_e32 v3, v3, v5
	s_delay_alu instid0(VALU_DEP_1) | instskip(SKIP_1) | instid1(VALU_DEP_1)
	v_mul_u64_e32 v[2:3], 24, v[2:3]
	s_wait_loadcnt 0x0
	v_add_nc_u64_e32 v[2:3], v[6:7], v[2:3]
	global_load_b64 v[2:3], v[2:3], off scope:SCOPE_SYS
	s_wait_xcnt 0x0
	s_wait_loadcnt 0x0
	global_atomic_cmpswap_b64 v[2:3], v0, v[2:5], s[4:5] offset:24 th:TH_ATOMIC_RETURN scope:SCOPE_SYS
	s_wait_loadcnt 0x0
	global_inv scope:SCOPE_SYS
	s_wait_xcnt 0x0
	v_cmpx_ne_u64_e64 v[2:3], v[4:5]
	s_cbranch_execz .LBB6_420
; %bb.417:
	s_mov_b32 s8, 0
.LBB6_418:                              ; =>This Inner Loop Header: Depth=1
	s_sleep 1
	s_clause 0x1
	global_load_b64 v[6:7], v0, s[4:5] offset:40
	global_load_b64 v[8:9], v0, s[4:5]
	v_mov_b64_e32 v[4:5], v[2:3]
	s_wait_loadcnt 0x1
	s_delay_alu instid0(VALU_DEP_1) | instskip(SKIP_1) | instid1(VALU_DEP_1)
	v_and_b32_e32 v1, v6, v4
	s_wait_loadcnt 0x0
	v_mad_nc_u64_u32 v[2:3], v1, 24, v[8:9]
	s_delay_alu instid0(VALU_DEP_3) | instskip(NEXT) | instid1(VALU_DEP_1)
	v_and_b32_e32 v1, v7, v5
	v_mad_u32 v3, v1, 24, v3
	global_load_b64 v[2:3], v[2:3], off scope:SCOPE_SYS
	s_wait_xcnt 0x0
	s_wait_loadcnt 0x0
	global_atomic_cmpswap_b64 v[2:3], v0, v[2:5], s[4:5] offset:24 th:TH_ATOMIC_RETURN scope:SCOPE_SYS
	s_wait_loadcnt 0x0
	global_inv scope:SCOPE_SYS
	v_cmp_eq_u64_e32 vcc_lo, v[2:3], v[4:5]
	s_or_b32 s8, vcc_lo, s8
	s_wait_xcnt 0x0
	s_and_not1_b32 exec_lo, exec_lo, s8
	s_cbranch_execnz .LBB6_418
; %bb.419:
	s_or_b32 exec_lo, exec_lo, s8
.LBB6_420:
	s_delay_alu instid0(SALU_CYCLE_1)
	s_or_b32 exec_lo, exec_lo, s7
.LBB6_421:
	s_delay_alu instid0(SALU_CYCLE_1)
	s_or_b32 exec_lo, exec_lo, s6
	v_readfirstlane_b32 s6, v2
	v_mov_b32_e32 v1, 0
	v_readfirstlane_b32 s7, v3
	s_mov_b32 s8, exec_lo
	s_wait_kmcnt 0x0
	s_clause 0x1
	global_load_b64 v[8:9], v1, s[4:5] offset:40
	global_load_b128 v[4:7], v1, s[4:5]
	s_wait_loadcnt 0x1
	v_and_b32_e32 v10, s6, v8
	v_and_b32_e32 v11, s7, v9
	s_delay_alu instid0(VALU_DEP_1) | instskip(SKIP_1) | instid1(VALU_DEP_1)
	v_mul_u64_e32 v[2:3], 24, v[10:11]
	s_wait_loadcnt 0x0
	v_add_nc_u64_e32 v[8:9], v[4:5], v[2:3]
	s_and_saveexec_b32 s9, s3
	s_cbranch_execz .LBB6_423
; %bb.422:
	v_mov_b64_e32 v[2:3], 0x100000002
	v_mov_b32_e32 v0, s8
	global_store_b128 v[8:9], v[0:3], off offset:8
.LBB6_423:
	s_wait_xcnt 0x0
	s_or_b32 exec_lo, exec_lo, s9
	v_lshlrev_b64_e32 v[2:3], 12, v[10:11]
	s_mov_b32 s8, 0
	v_dual_lshlrev_b32 v0, 6, v29 :: v_dual_mov_b32 v10, 33
	s_mov_b32 s10, s8
	s_mov_b32 s11, s8
	;; [unrolled: 1-line block ×3, first 2 shown]
	s_delay_alu instid0(VALU_DEP_2)
	v_add_nc_u64_e32 v[6:7], v[6:7], v[2:3]
	v_mov_b64_e32 v[16:17], s[10:11]
	v_mov_b64_e32 v[14:15], s[8:9]
	v_dual_mov_b32 v11, v1 :: v_dual_mov_b32 v12, v1
	v_mov_b32_e32 v13, v1
	v_readfirstlane_b32 s12, v6
	v_readfirstlane_b32 s13, v7
	s_clause 0x3
	global_store_b128 v0, v[10:13], s[12:13]
	global_store_b128 v0, v[14:17], s[12:13] offset:16
	global_store_b128 v0, v[14:17], s[12:13] offset:32
	;; [unrolled: 1-line block ×3, first 2 shown]
	s_wait_xcnt 0x0
	s_and_saveexec_b32 s8, s3
	s_cbranch_execz .LBB6_431
; %bb.424:
	v_dual_mov_b32 v12, 0 :: v_dual_mov_b32 v15, s7
	s_mov_b32 s9, exec_lo
	s_clause 0x1
	global_load_b64 v[16:17], v12, s[4:5] offset:32 scope:SCOPE_SYS
	global_load_b64 v[2:3], v12, s[4:5] offset:40
	s_wait_loadcnt 0x0
	v_dual_mov_b32 v14, s6 :: v_dual_bitop2_b32 v3, s7, v3 bitop3:0x40
	v_and_b32_e32 v2, s6, v2
	s_delay_alu instid0(VALU_DEP_1) | instskip(NEXT) | instid1(VALU_DEP_1)
	v_mul_u64_e32 v[2:3], 24, v[2:3]
	v_add_nc_u64_e32 v[10:11], v[4:5], v[2:3]
	global_store_b64 v[10:11], v[16:17], off
	global_wb scope:SCOPE_SYS
	s_wait_storecnt 0x0
	s_wait_xcnt 0x0
	global_atomic_cmpswap_b64 v[4:5], v12, v[14:17], s[4:5] offset:32 th:TH_ATOMIC_RETURN scope:SCOPE_SYS
	s_wait_loadcnt 0x0
	v_cmpx_ne_u64_e64 v[4:5], v[16:17]
	s_cbranch_execz .LBB6_427
; %bb.425:
	s_mov_b32 s10, 0
.LBB6_426:                              ; =>This Inner Loop Header: Depth=1
	v_dual_mov_b32 v2, s6 :: v_dual_mov_b32 v3, s7
	s_sleep 1
	global_store_b64 v[10:11], v[4:5], off
	global_wb scope:SCOPE_SYS
	s_wait_storecnt 0x0
	s_wait_xcnt 0x0
	global_atomic_cmpswap_b64 v[2:3], v12, v[2:5], s[4:5] offset:32 th:TH_ATOMIC_RETURN scope:SCOPE_SYS
	s_wait_loadcnt 0x0
	v_cmp_eq_u64_e32 vcc_lo, v[2:3], v[4:5]
	v_mov_b64_e32 v[4:5], v[2:3]
	s_or_b32 s10, vcc_lo, s10
	s_delay_alu instid0(SALU_CYCLE_1)
	s_and_not1_b32 exec_lo, exec_lo, s10
	s_cbranch_execnz .LBB6_426
.LBB6_427:
	s_or_b32 exec_lo, exec_lo, s9
	v_mov_b32_e32 v5, 0
	s_mov_b32 s10, exec_lo
	s_mov_b32 s9, exec_lo
	v_mbcnt_lo_u32_b32 v4, s10, 0
	global_load_b64 v[2:3], v5, s[4:5] offset:16
	s_wait_xcnt 0x0
	v_cmpx_eq_u32_e32 0, v4
	s_cbranch_execz .LBB6_429
; %bb.428:
	s_bcnt1_i32_b32 s10, s10
	s_delay_alu instid0(SALU_CYCLE_1)
	v_mov_b32_e32 v4, s10
	global_wb scope:SCOPE_SYS
	s_wait_loadcnt 0x0
	s_wait_storecnt 0x0
	global_atomic_add_u64 v[2:3], v[4:5], off offset:8 scope:SCOPE_SYS
.LBB6_429:
	s_wait_xcnt 0x0
	s_or_b32 exec_lo, exec_lo, s9
	s_wait_loadcnt 0x0
	global_load_b64 v[4:5], v[2:3], off offset:16
	s_wait_loadcnt 0x0
	v_cmp_eq_u64_e32 vcc_lo, 0, v[4:5]
	s_cbranch_vccnz .LBB6_431
; %bb.430:
	global_load_b32 v2, v[2:3], off offset:24
	s_wait_xcnt 0x0
	v_mov_b32_e32 v3, 0
	s_wait_loadcnt 0x0
	v_readfirstlane_b32 s9, v2
	global_wb scope:SCOPE_SYS
	s_wait_storecnt 0x0
	global_store_b64 v[4:5], v[2:3], off scope:SCOPE_SYS
	s_and_b32 m0, s9, 0xffffff
	s_sendmsg sendmsg(MSG_INTERRUPT)
.LBB6_431:
	s_wait_xcnt 0x0
	s_or_b32 exec_lo, exec_lo, s8
	v_add_nc_u64_e32 v[2:3], v[6:7], v[0:1]
	s_branch .LBB6_435
.LBB6_432:                              ;   in Loop: Header=BB6_435 Depth=1
	s_wait_xcnt 0x0
	s_or_b32 exec_lo, exec_lo, s8
	s_delay_alu instid0(VALU_DEP_1)
	v_readfirstlane_b32 s8, v1
	s_cmp_eq_u32 s8, 0
	s_cbranch_scc1 .LBB6_434
; %bb.433:                              ;   in Loop: Header=BB6_435 Depth=1
	s_sleep 1
	s_cbranch_execnz .LBB6_435
	s_branch .LBB6_437
.LBB6_434:
	s_branch .LBB6_437
.LBB6_435:                              ; =>This Inner Loop Header: Depth=1
	v_mov_b32_e32 v1, 1
	s_and_saveexec_b32 s8, s3
	s_cbranch_execz .LBB6_432
; %bb.436:                              ;   in Loop: Header=BB6_435 Depth=1
	global_load_b32 v1, v[8:9], off offset:20 scope:SCOPE_SYS
	s_wait_loadcnt 0x0
	global_inv scope:SCOPE_SYS
	v_and_b32_e32 v1, 1, v1
	s_branch .LBB6_432
.LBB6_437:
	global_load_b64 v[2:3], v[2:3], off
	s_wait_xcnt 0x0
	s_and_saveexec_b32 s8, s3
	s_cbranch_execz .LBB6_441
; %bb.438:
	v_mov_b32_e32 v1, 0
	s_clause 0x2
	global_load_b64 v[4:5], v1, s[4:5] offset:40
	global_load_b64 v[12:13], v1, s[4:5] offset:24 scope:SCOPE_SYS
	global_load_b64 v[6:7], v1, s[4:5]
	s_wait_loadcnt 0x2
	v_readfirstlane_b32 s10, v4
	v_readfirstlane_b32 s11, v5
	s_add_nc_u64 s[12:13], s[10:11], 1
	s_delay_alu instid0(SALU_CYCLE_1) | instskip(NEXT) | instid1(SALU_CYCLE_1)
	s_add_nc_u64 s[6:7], s[12:13], s[6:7]
	s_cmp_eq_u64 s[6:7], 0
	s_cselect_b32 s7, s13, s7
	s_cselect_b32 s6, s12, s6
	v_mov_b32_e32 v11, s7
	s_and_b64 s[10:11], s[6:7], s[10:11]
	v_mov_b32_e32 v10, s6
	s_mul_u64 s[10:11], s[10:11], 24
	s_wait_loadcnt 0x0
	v_add_nc_u64_e32 v[8:9], s[10:11], v[6:7]
	global_store_b64 v[8:9], v[12:13], off
	global_wb scope:SCOPE_SYS
	s_wait_storecnt 0x0
	s_wait_xcnt 0x0
	global_atomic_cmpswap_b64 v[6:7], v1, v[10:13], s[4:5] offset:24 th:TH_ATOMIC_RETURN scope:SCOPE_SYS
	s_wait_loadcnt 0x0
	v_cmp_ne_u64_e32 vcc_lo, v[6:7], v[12:13]
	s_and_b32 exec_lo, exec_lo, vcc_lo
	s_cbranch_execz .LBB6_441
; %bb.439:
	s_mov_b32 s3, 0
.LBB6_440:                              ; =>This Inner Loop Header: Depth=1
	v_dual_mov_b32 v4, s6 :: v_dual_mov_b32 v5, s7
	s_sleep 1
	global_store_b64 v[8:9], v[6:7], off
	global_wb scope:SCOPE_SYS
	s_wait_storecnt 0x0
	s_wait_xcnt 0x0
	global_atomic_cmpswap_b64 v[4:5], v1, v[4:7], s[4:5] offset:24 th:TH_ATOMIC_RETURN scope:SCOPE_SYS
	s_wait_loadcnt 0x0
	v_cmp_eq_u64_e32 vcc_lo, v[4:5], v[6:7]
	v_mov_b64_e32 v[6:7], v[4:5]
	s_or_b32 s3, vcc_lo, s3
	s_delay_alu instid0(SALU_CYCLE_1)
	s_and_not1_b32 exec_lo, exec_lo, s3
	s_cbranch_execnz .LBB6_440
.LBB6_441:
	s_or_b32 exec_lo, exec_lo, s8
	s_get_pc_i64 s[6:7]
	s_add_nc_u64 s[6:7], s[6:7], .str.9@rel64+4
	s_mov_b64 s[8:9], 0
	s_cmp_lg_u64 s[6:7], 0
	s_cselect_b32 s3, -1, 0
	s_cmp_eq_u64 s[6:7], 0
	s_cbranch_scc1 .LBB6_445
; %bb.442:
	s_get_pc_i64 s[8:9]
	s_add_nc_u64 s[8:9], s[8:9], .str.9@rel64+3
.LBB6_443:                              ; =>This Inner Loop Header: Depth=1
	s_load_u8 s10, s[8:9], 0x1
	s_wait_xcnt 0x0
	s_add_nc_u64 s[8:9], s[8:9], 1
	s_wait_kmcnt 0x0
	s_cmp_lg_u32 s10, 0
	s_cbranch_scc1 .LBB6_443
; %bb.444:
	s_get_pc_i64 s[10:11]
	s_add_nc_u64 s[10:11], s[10:11], .str.9@rel64+4
	s_delay_alu instid0(SALU_CYCLE_1) | instskip(NEXT) | instid1(SALU_CYCLE_1)
	s_sub_nc_u64 s[8:9], s[8:9], s[10:11]
	s_add_nc_u64 s[8:9], s[8:9], 1
.LBB6_445:
	s_and_b32 vcc_lo, exec_lo, s3
	s_cbranch_vccz .LBB6_524
; %bb.446:
	v_mov_b64_e32 v[10:11], 0x100000002
	s_wait_loadcnt 0x0
	v_dual_mov_b32 v9, 0 :: v_dual_bitop2_b32 v30, 2, v2 bitop3:0x40
	v_dual_mov_b32 v5, v3 :: v_dual_bitop2_b32 v4, -3, v2 bitop3:0x40
	s_branch .LBB6_448
.LBB6_447:                              ;   in Loop: Header=BB6_448 Depth=1
	s_or_b32 exec_lo, exec_lo, s14
	s_sub_nc_u64 s[8:9], s[8:9], s[10:11]
	s_add_nc_u64 s[6:7], s[6:7], s[10:11]
	s_cmp_lg_u64 s[8:9], 0
	s_cbranch_scc0 .LBB6_523
.LBB6_448:                              ; =>This Loop Header: Depth=1
                                        ;     Child Loop BB6_451 Depth 2
                                        ;     Child Loop BB6_458 Depth 2
	;; [unrolled: 1-line block ×11, first 2 shown]
	v_min_u64 v[6:7], s[8:9], 56
	v_cmp_gt_u64_e64 s3, s[8:9], 7
	s_and_b32 vcc_lo, exec_lo, s3
	v_readfirstlane_b32 s10, v6
	v_readfirstlane_b32 s11, v7
	s_cbranch_vccnz .LBB6_453
; %bb.449:                              ;   in Loop: Header=BB6_448 Depth=1
	v_mov_b64_e32 v[6:7], 0
	s_cmp_eq_u64 s[8:9], 0
	s_cbranch_scc1 .LBB6_452
; %bb.450:                              ;   in Loop: Header=BB6_448 Depth=1
	s_mov_b64 s[12:13], 0
	s_mov_b64 s[14:15], 0
.LBB6_451:                              ;   Parent Loop BB6_448 Depth=1
                                        ; =>  This Inner Loop Header: Depth=2
	s_wait_xcnt 0x0
	s_add_nc_u64 s[16:17], s[6:7], s[14:15]
	s_add_nc_u64 s[14:15], s[14:15], 1
	global_load_u8 v1, v9, s[16:17]
	s_cmp_lg_u32 s10, s14
	s_wait_loadcnt 0x0
	v_and_b32_e32 v8, 0xffff, v1
	s_delay_alu instid0(VALU_DEP_1) | instskip(SKIP_1) | instid1(VALU_DEP_1)
	v_lshlrev_b64_e32 v[12:13], s12, v[8:9]
	s_add_nc_u64 s[12:13], s[12:13], 8
	v_or_b32_e32 v6, v12, v6
	s_delay_alu instid0(VALU_DEP_2)
	v_or_b32_e32 v7, v13, v7
	s_cbranch_scc1 .LBB6_451
.LBB6_452:                              ;   in Loop: Header=BB6_448 Depth=1
	s_mov_b64 s[14:15], s[6:7]
	s_mov_b32 s3, 0
	s_cbranch_execz .LBB6_454
	s_branch .LBB6_455
.LBB6_453:                              ;   in Loop: Header=BB6_448 Depth=1
	s_add_nc_u64 s[14:15], s[6:7], 8
	s_mov_b32 s3, 0
.LBB6_454:                              ;   in Loop: Header=BB6_448 Depth=1
	global_load_b64 v[6:7], v9, s[6:7]
	s_add_co_i32 s3, s10, -8
.LBB6_455:                              ;   in Loop: Header=BB6_448 Depth=1
	s_delay_alu instid0(SALU_CYCLE_1)
	s_cmp_gt_u32 s3, 7
	s_cbranch_scc1 .LBB6_460
; %bb.456:                              ;   in Loop: Header=BB6_448 Depth=1
	v_mov_b64_e32 v[12:13], 0
	s_cmp_eq_u32 s3, 0
	s_cbranch_scc1 .LBB6_459
; %bb.457:                              ;   in Loop: Header=BB6_448 Depth=1
	s_mov_b64 s[12:13], 0
	s_wait_xcnt 0x0
	s_mov_b64 s[16:17], 0
.LBB6_458:                              ;   Parent Loop BB6_448 Depth=1
                                        ; =>  This Inner Loop Header: Depth=2
	s_wait_xcnt 0x0
	s_add_nc_u64 s[18:19], s[14:15], s[16:17]
	s_add_nc_u64 s[16:17], s[16:17], 1
	global_load_u8 v1, v9, s[18:19]
	s_cmp_lg_u32 s3, s16
	s_wait_loadcnt 0x0
	v_and_b32_e32 v8, 0xffff, v1
	s_delay_alu instid0(VALU_DEP_1) | instskip(SKIP_1) | instid1(VALU_DEP_1)
	v_lshlrev_b64_e32 v[14:15], s12, v[8:9]
	s_add_nc_u64 s[12:13], s[12:13], 8
	v_or_b32_e32 v12, v14, v12
	s_delay_alu instid0(VALU_DEP_2)
	v_or_b32_e32 v13, v15, v13
	s_cbranch_scc1 .LBB6_458
.LBB6_459:                              ;   in Loop: Header=BB6_448 Depth=1
	s_wait_xcnt 0x0
	s_mov_b64 s[12:13], s[14:15]
	s_mov_b32 s18, 0
	s_cbranch_execz .LBB6_461
	s_branch .LBB6_462
.LBB6_460:                              ;   in Loop: Header=BB6_448 Depth=1
	s_add_nc_u64 s[12:13], s[14:15], 8
	s_wait_xcnt 0x0
                                        ; implicit-def: $vgpr12_vgpr13
	s_mov_b32 s18, 0
.LBB6_461:                              ;   in Loop: Header=BB6_448 Depth=1
	global_load_b64 v[12:13], v9, s[14:15]
	s_add_co_i32 s18, s3, -8
.LBB6_462:                              ;   in Loop: Header=BB6_448 Depth=1
	s_delay_alu instid0(SALU_CYCLE_1)
	s_cmp_gt_u32 s18, 7
	s_cbranch_scc1 .LBB6_467
; %bb.463:                              ;   in Loop: Header=BB6_448 Depth=1
	v_mov_b64_e32 v[14:15], 0
	s_cmp_eq_u32 s18, 0
	s_cbranch_scc1 .LBB6_466
; %bb.464:                              ;   in Loop: Header=BB6_448 Depth=1
	s_wait_xcnt 0x0
	s_mov_b64 s[14:15], 0
	s_mov_b64 s[16:17], 0
.LBB6_465:                              ;   Parent Loop BB6_448 Depth=1
                                        ; =>  This Inner Loop Header: Depth=2
	s_wait_xcnt 0x0
	s_add_nc_u64 s[20:21], s[12:13], s[16:17]
	s_add_nc_u64 s[16:17], s[16:17], 1
	global_load_u8 v1, v9, s[20:21]
	s_cmp_lg_u32 s18, s16
	s_wait_loadcnt 0x0
	v_and_b32_e32 v8, 0xffff, v1
	s_delay_alu instid0(VALU_DEP_1) | instskip(SKIP_1) | instid1(VALU_DEP_1)
	v_lshlrev_b64_e32 v[16:17], s14, v[8:9]
	s_add_nc_u64 s[14:15], s[14:15], 8
	v_or_b32_e32 v14, v16, v14
	s_delay_alu instid0(VALU_DEP_2)
	v_or_b32_e32 v15, v17, v15
	s_cbranch_scc1 .LBB6_465
.LBB6_466:                              ;   in Loop: Header=BB6_448 Depth=1
	s_wait_xcnt 0x0
	s_mov_b64 s[14:15], s[12:13]
	s_mov_b32 s3, 0
	s_cbranch_execz .LBB6_468
	s_branch .LBB6_469
.LBB6_467:                              ;   in Loop: Header=BB6_448 Depth=1
	s_wait_xcnt 0x0
	s_add_nc_u64 s[14:15], s[12:13], 8
	s_mov_b32 s3, 0
.LBB6_468:                              ;   in Loop: Header=BB6_448 Depth=1
	global_load_b64 v[14:15], v9, s[12:13]
	s_add_co_i32 s3, s18, -8
.LBB6_469:                              ;   in Loop: Header=BB6_448 Depth=1
	s_delay_alu instid0(SALU_CYCLE_1)
	s_cmp_gt_u32 s3, 7
	s_cbranch_scc1 .LBB6_474
; %bb.470:                              ;   in Loop: Header=BB6_448 Depth=1
	v_mov_b64_e32 v[16:17], 0
	s_cmp_eq_u32 s3, 0
	s_cbranch_scc1 .LBB6_473
; %bb.471:                              ;   in Loop: Header=BB6_448 Depth=1
	s_wait_xcnt 0x0
	s_mov_b64 s[12:13], 0
	s_mov_b64 s[16:17], 0
.LBB6_472:                              ;   Parent Loop BB6_448 Depth=1
                                        ; =>  This Inner Loop Header: Depth=2
	s_wait_xcnt 0x0
	s_add_nc_u64 s[18:19], s[14:15], s[16:17]
	s_add_nc_u64 s[16:17], s[16:17], 1
	global_load_u8 v1, v9, s[18:19]
	s_cmp_lg_u32 s3, s16
	s_wait_loadcnt 0x0
	v_and_b32_e32 v8, 0xffff, v1
	s_delay_alu instid0(VALU_DEP_1) | instskip(SKIP_1) | instid1(VALU_DEP_1)
	v_lshlrev_b64_e32 v[18:19], s12, v[8:9]
	s_add_nc_u64 s[12:13], s[12:13], 8
	v_or_b32_e32 v16, v18, v16
	s_delay_alu instid0(VALU_DEP_2)
	v_or_b32_e32 v17, v19, v17
	s_cbranch_scc1 .LBB6_472
.LBB6_473:                              ;   in Loop: Header=BB6_448 Depth=1
	s_wait_xcnt 0x0
	s_mov_b64 s[12:13], s[14:15]
	s_mov_b32 s18, 0
	s_cbranch_execz .LBB6_475
	s_branch .LBB6_476
.LBB6_474:                              ;   in Loop: Header=BB6_448 Depth=1
	s_wait_xcnt 0x0
	s_add_nc_u64 s[12:13], s[14:15], 8
                                        ; implicit-def: $vgpr16_vgpr17
	s_mov_b32 s18, 0
.LBB6_475:                              ;   in Loop: Header=BB6_448 Depth=1
	global_load_b64 v[16:17], v9, s[14:15]
	s_add_co_i32 s18, s3, -8
.LBB6_476:                              ;   in Loop: Header=BB6_448 Depth=1
	s_delay_alu instid0(SALU_CYCLE_1)
	s_cmp_gt_u32 s18, 7
	s_cbranch_scc1 .LBB6_481
; %bb.477:                              ;   in Loop: Header=BB6_448 Depth=1
	v_mov_b64_e32 v[18:19], 0
	s_cmp_eq_u32 s18, 0
	s_cbranch_scc1 .LBB6_480
; %bb.478:                              ;   in Loop: Header=BB6_448 Depth=1
	s_wait_xcnt 0x0
	s_mov_b64 s[14:15], 0
	s_mov_b64 s[16:17], 0
.LBB6_479:                              ;   Parent Loop BB6_448 Depth=1
                                        ; =>  This Inner Loop Header: Depth=2
	s_wait_xcnt 0x0
	s_add_nc_u64 s[20:21], s[12:13], s[16:17]
	s_add_nc_u64 s[16:17], s[16:17], 1
	global_load_u8 v1, v9, s[20:21]
	s_cmp_lg_u32 s18, s16
	s_wait_loadcnt 0x0
	v_and_b32_e32 v8, 0xffff, v1
	s_delay_alu instid0(VALU_DEP_1) | instskip(SKIP_1) | instid1(VALU_DEP_1)
	v_lshlrev_b64_e32 v[20:21], s14, v[8:9]
	s_add_nc_u64 s[14:15], s[14:15], 8
	v_or_b32_e32 v18, v20, v18
	s_delay_alu instid0(VALU_DEP_2)
	v_or_b32_e32 v19, v21, v19
	s_cbranch_scc1 .LBB6_479
.LBB6_480:                              ;   in Loop: Header=BB6_448 Depth=1
	s_wait_xcnt 0x0
	s_mov_b64 s[14:15], s[12:13]
	s_mov_b32 s3, 0
	s_cbranch_execz .LBB6_482
	s_branch .LBB6_483
.LBB6_481:                              ;   in Loop: Header=BB6_448 Depth=1
	s_wait_xcnt 0x0
	s_add_nc_u64 s[14:15], s[12:13], 8
	s_mov_b32 s3, 0
.LBB6_482:                              ;   in Loop: Header=BB6_448 Depth=1
	global_load_b64 v[18:19], v9, s[12:13]
	s_add_co_i32 s3, s18, -8
.LBB6_483:                              ;   in Loop: Header=BB6_448 Depth=1
	s_delay_alu instid0(SALU_CYCLE_1)
	s_cmp_gt_u32 s3, 7
	s_cbranch_scc1 .LBB6_488
; %bb.484:                              ;   in Loop: Header=BB6_448 Depth=1
	v_mov_b64_e32 v[20:21], 0
	s_cmp_eq_u32 s3, 0
	s_cbranch_scc1 .LBB6_487
; %bb.485:                              ;   in Loop: Header=BB6_448 Depth=1
	s_wait_xcnt 0x0
	s_mov_b64 s[12:13], 0
	s_mov_b64 s[16:17], 0
.LBB6_486:                              ;   Parent Loop BB6_448 Depth=1
                                        ; =>  This Inner Loop Header: Depth=2
	s_wait_xcnt 0x0
	s_add_nc_u64 s[18:19], s[14:15], s[16:17]
	s_add_nc_u64 s[16:17], s[16:17], 1
	global_load_u8 v1, v9, s[18:19]
	s_cmp_lg_u32 s3, s16
	s_wait_loadcnt 0x0
	v_and_b32_e32 v8, 0xffff, v1
	s_delay_alu instid0(VALU_DEP_1) | instskip(SKIP_1) | instid1(VALU_DEP_1)
	v_lshlrev_b64_e32 v[22:23], s12, v[8:9]
	s_add_nc_u64 s[12:13], s[12:13], 8
	v_or_b32_e32 v20, v22, v20
	s_delay_alu instid0(VALU_DEP_2)
	v_or_b32_e32 v21, v23, v21
	s_cbranch_scc1 .LBB6_486
.LBB6_487:                              ;   in Loop: Header=BB6_448 Depth=1
	s_wait_xcnt 0x0
	s_mov_b64 s[12:13], s[14:15]
	s_mov_b32 s18, 0
	s_cbranch_execz .LBB6_489
	s_branch .LBB6_490
.LBB6_488:                              ;   in Loop: Header=BB6_448 Depth=1
	s_wait_xcnt 0x0
	s_add_nc_u64 s[12:13], s[14:15], 8
                                        ; implicit-def: $vgpr20_vgpr21
	s_mov_b32 s18, 0
.LBB6_489:                              ;   in Loop: Header=BB6_448 Depth=1
	global_load_b64 v[20:21], v9, s[14:15]
	s_add_co_i32 s18, s3, -8
.LBB6_490:                              ;   in Loop: Header=BB6_448 Depth=1
	s_delay_alu instid0(SALU_CYCLE_1)
	s_cmp_gt_u32 s18, 7
	s_cbranch_scc1 .LBB6_495
; %bb.491:                              ;   in Loop: Header=BB6_448 Depth=1
	v_mov_b64_e32 v[22:23], 0
	s_cmp_eq_u32 s18, 0
	s_cbranch_scc1 .LBB6_494
; %bb.492:                              ;   in Loop: Header=BB6_448 Depth=1
	s_wait_xcnt 0x0
	s_mov_b64 s[14:15], 0
	s_mov_b64 s[16:17], s[12:13]
.LBB6_493:                              ;   Parent Loop BB6_448 Depth=1
                                        ; =>  This Inner Loop Header: Depth=2
	global_load_u8 v1, v9, s[16:17]
	s_add_co_i32 s18, s18, -1
	s_wait_xcnt 0x0
	s_add_nc_u64 s[16:17], s[16:17], 1
	s_cmp_lg_u32 s18, 0
	s_wait_loadcnt 0x0
	v_and_b32_e32 v8, 0xffff, v1
	s_delay_alu instid0(VALU_DEP_1) | instskip(SKIP_1) | instid1(VALU_DEP_1)
	v_lshlrev_b64_e32 v[24:25], s14, v[8:9]
	s_add_nc_u64 s[14:15], s[14:15], 8
	v_or_b32_e32 v22, v24, v22
	s_delay_alu instid0(VALU_DEP_2)
	v_or_b32_e32 v23, v25, v23
	s_cbranch_scc1 .LBB6_493
.LBB6_494:                              ;   in Loop: Header=BB6_448 Depth=1
	s_cbranch_execz .LBB6_496
	s_branch .LBB6_497
.LBB6_495:                              ;   in Loop: Header=BB6_448 Depth=1
.LBB6_496:                              ;   in Loop: Header=BB6_448 Depth=1
	global_load_b64 v[22:23], v9, s[12:13]
.LBB6_497:                              ;   in Loop: Header=BB6_448 Depth=1
	v_readfirstlane_b32 s3, v29
	v_mov_b64_e32 v[32:33], 0
	s_delay_alu instid0(VALU_DEP_2)
	v_cmp_eq_u32_e64 s3, s3, v29
	s_wait_xcnt 0x0
	s_and_saveexec_b32 s12, s3
	s_cbranch_execz .LBB6_503
; %bb.498:                              ;   in Loop: Header=BB6_448 Depth=1
	global_load_b64 v[26:27], v9, s[4:5] offset:24 scope:SCOPE_SYS
	s_wait_loadcnt 0x0
	global_inv scope:SCOPE_SYS
	s_clause 0x1
	global_load_b64 v[24:25], v9, s[4:5] offset:40
	global_load_b64 v[32:33], v9, s[4:5]
	s_mov_b32 s13, exec_lo
	s_wait_loadcnt 0x1
	v_and_b32_e32 v24, v24, v26
	v_and_b32_e32 v25, v25, v27
	s_delay_alu instid0(VALU_DEP_1) | instskip(SKIP_1) | instid1(VALU_DEP_1)
	v_mul_u64_e32 v[24:25], 24, v[24:25]
	s_wait_loadcnt 0x0
	v_add_nc_u64_e32 v[24:25], v[32:33], v[24:25]
	global_load_b64 v[24:25], v[24:25], off scope:SCOPE_SYS
	s_wait_xcnt 0x0
	s_wait_loadcnt 0x0
	global_atomic_cmpswap_b64 v[32:33], v9, v[24:27], s[4:5] offset:24 th:TH_ATOMIC_RETURN scope:SCOPE_SYS
	s_wait_loadcnt 0x0
	global_inv scope:SCOPE_SYS
	s_wait_xcnt 0x0
	v_cmpx_ne_u64_e64 v[32:33], v[26:27]
	s_cbranch_execz .LBB6_502
; %bb.499:                              ;   in Loop: Header=BB6_448 Depth=1
	s_mov_b32 s14, 0
.LBB6_500:                              ;   Parent Loop BB6_448 Depth=1
                                        ; =>  This Inner Loop Header: Depth=2
	s_sleep 1
	s_clause 0x1
	global_load_b64 v[24:25], v9, s[4:5] offset:40
	global_load_b64 v[34:35], v9, s[4:5]
	v_mov_b64_e32 v[26:27], v[32:33]
	s_wait_loadcnt 0x1
	s_delay_alu instid0(VALU_DEP_1) | instskip(SKIP_1) | instid1(VALU_DEP_1)
	v_and_b32_e32 v1, v24, v26
	s_wait_loadcnt 0x0
	v_mad_nc_u64_u32 v[32:33], v1, 24, v[34:35]
	s_delay_alu instid0(VALU_DEP_3) | instskip(NEXT) | instid1(VALU_DEP_1)
	v_and_b32_e32 v1, v25, v27
	v_mad_u32 v33, v1, 24, v33
	global_load_b64 v[24:25], v[32:33], off scope:SCOPE_SYS
	s_wait_xcnt 0x0
	s_wait_loadcnt 0x0
	global_atomic_cmpswap_b64 v[32:33], v9, v[24:27], s[4:5] offset:24 th:TH_ATOMIC_RETURN scope:SCOPE_SYS
	s_wait_loadcnt 0x0
	global_inv scope:SCOPE_SYS
	v_cmp_eq_u64_e32 vcc_lo, v[32:33], v[26:27]
	s_or_b32 s14, vcc_lo, s14
	s_wait_xcnt 0x0
	s_and_not1_b32 exec_lo, exec_lo, s14
	s_cbranch_execnz .LBB6_500
; %bb.501:                              ;   in Loop: Header=BB6_448 Depth=1
	s_or_b32 exec_lo, exec_lo, s14
.LBB6_502:                              ;   in Loop: Header=BB6_448 Depth=1
	s_delay_alu instid0(SALU_CYCLE_1)
	s_or_b32 exec_lo, exec_lo, s13
.LBB6_503:                              ;   in Loop: Header=BB6_448 Depth=1
	s_delay_alu instid0(SALU_CYCLE_1)
	s_or_b32 exec_lo, exec_lo, s12
	s_clause 0x1
	global_load_b64 v[34:35], v9, s[4:5] offset:40
	global_load_b128 v[24:27], v9, s[4:5]
	v_readfirstlane_b32 s12, v32
	v_readfirstlane_b32 s13, v33
	s_mov_b32 s14, exec_lo
	s_wait_loadcnt 0x1
	v_and_b32_e32 v34, s12, v34
	v_and_b32_e32 v35, s13, v35
	s_delay_alu instid0(VALU_DEP_1) | instskip(SKIP_1) | instid1(VALU_DEP_1)
	v_mul_u64_e32 v[32:33], 24, v[34:35]
	s_wait_loadcnt 0x0
	v_add_nc_u64_e32 v[32:33], v[24:25], v[32:33]
	s_wait_xcnt 0x0
	s_and_saveexec_b32 s15, s3
	s_cbranch_execz .LBB6_505
; %bb.504:                              ;   in Loop: Header=BB6_448 Depth=1
	v_mov_b32_e32 v8, s14
	global_store_b128 v[32:33], v[8:11], off offset:8
.LBB6_505:                              ;   in Loop: Header=BB6_448 Depth=1
	s_wait_xcnt 0x0
	s_or_b32 exec_lo, exec_lo, s15
	v_cmp_lt_u64_e64 vcc_lo, s[8:9], 57
	v_lshlrev_b64_e32 v[34:35], 12, v[34:35]
	v_and_b32_e32 v4, 0xffffff1f, v4
	s_lshl_b32 s14, s10, 2
	s_delay_alu instid0(SALU_CYCLE_1) | instskip(SKIP_1) | instid1(VALU_DEP_3)
	s_add_co_i32 s14, s14, 28
	v_cndmask_b32_e32 v1, 0, v30, vcc_lo
	v_add_nc_u64_e32 v[26:27], v[26:27], v[34:35]
	s_delay_alu instid0(VALU_DEP_2) | instskip(NEXT) | instid1(VALU_DEP_2)
	v_or_b32_e32 v1, v4, v1
	v_readfirstlane_b32 s15, v27
	s_delay_alu instid0(VALU_DEP_2) | instskip(NEXT) | instid1(VALU_DEP_4)
	v_and_or_b32 v4, 0x1e0, s14, v1
	v_readfirstlane_b32 s14, v26
	s_clause 0x3
	global_store_b128 v0, v[4:7], s[14:15]
	global_store_b128 v0, v[12:15], s[14:15] offset:16
	global_store_b128 v0, v[16:19], s[14:15] offset:32
	;; [unrolled: 1-line block ×3, first 2 shown]
	s_wait_xcnt 0x0
	s_and_saveexec_b32 s14, s3
	s_cbranch_execz .LBB6_513
; %bb.506:                              ;   in Loop: Header=BB6_448 Depth=1
	s_clause 0x1
	global_load_b64 v[16:17], v9, s[4:5] offset:32 scope:SCOPE_SYS
	global_load_b64 v[4:5], v9, s[4:5] offset:40
	s_mov_b32 s15, exec_lo
	v_dual_mov_b32 v14, s12 :: v_dual_mov_b32 v15, s13
	s_wait_loadcnt 0x0
	v_and_b32_e32 v5, s13, v5
	v_and_b32_e32 v4, s12, v4
	s_delay_alu instid0(VALU_DEP_1) | instskip(NEXT) | instid1(VALU_DEP_1)
	v_mul_u64_e32 v[4:5], 24, v[4:5]
	v_add_nc_u64_e32 v[12:13], v[24:25], v[4:5]
	global_store_b64 v[12:13], v[16:17], off
	global_wb scope:SCOPE_SYS
	s_wait_storecnt 0x0
	s_wait_xcnt 0x0
	global_atomic_cmpswap_b64 v[6:7], v9, v[14:17], s[4:5] offset:32 th:TH_ATOMIC_RETURN scope:SCOPE_SYS
	s_wait_loadcnt 0x0
	v_cmpx_ne_u64_e64 v[6:7], v[16:17]
	s_cbranch_execz .LBB6_509
; %bb.507:                              ;   in Loop: Header=BB6_448 Depth=1
	s_mov_b32 s16, 0
.LBB6_508:                              ;   Parent Loop BB6_448 Depth=1
                                        ; =>  This Inner Loop Header: Depth=2
	v_dual_mov_b32 v4, s12 :: v_dual_mov_b32 v5, s13
	s_sleep 1
	global_store_b64 v[12:13], v[6:7], off
	global_wb scope:SCOPE_SYS
	s_wait_storecnt 0x0
	s_wait_xcnt 0x0
	global_atomic_cmpswap_b64 v[4:5], v9, v[4:7], s[4:5] offset:32 th:TH_ATOMIC_RETURN scope:SCOPE_SYS
	s_wait_loadcnt 0x0
	v_cmp_eq_u64_e32 vcc_lo, v[4:5], v[6:7]
	v_mov_b64_e32 v[6:7], v[4:5]
	s_or_b32 s16, vcc_lo, s16
	s_delay_alu instid0(SALU_CYCLE_1)
	s_and_not1_b32 exec_lo, exec_lo, s16
	s_cbranch_execnz .LBB6_508
.LBB6_509:                              ;   in Loop: Header=BB6_448 Depth=1
	s_or_b32 exec_lo, exec_lo, s15
	global_load_b64 v[4:5], v9, s[4:5] offset:16
	s_mov_b32 s16, exec_lo
	s_mov_b32 s15, exec_lo
	v_mbcnt_lo_u32_b32 v1, s16, 0
	s_wait_xcnt 0x0
	s_delay_alu instid0(VALU_DEP_1)
	v_cmpx_eq_u32_e32 0, v1
	s_cbranch_execz .LBB6_511
; %bb.510:                              ;   in Loop: Header=BB6_448 Depth=1
	s_bcnt1_i32_b32 s16, s16
	s_delay_alu instid0(SALU_CYCLE_1)
	v_mov_b32_e32 v8, s16
	global_wb scope:SCOPE_SYS
	s_wait_loadcnt 0x0
	s_wait_storecnt 0x0
	global_atomic_add_u64 v[4:5], v[8:9], off offset:8 scope:SCOPE_SYS
.LBB6_511:                              ;   in Loop: Header=BB6_448 Depth=1
	s_wait_xcnt 0x0
	s_or_b32 exec_lo, exec_lo, s15
	s_wait_loadcnt 0x0
	global_load_b64 v[6:7], v[4:5], off offset:16
	s_wait_loadcnt 0x0
	v_cmp_eq_u64_e32 vcc_lo, 0, v[6:7]
	s_cbranch_vccnz .LBB6_513
; %bb.512:                              ;   in Loop: Header=BB6_448 Depth=1
	global_load_b32 v8, v[4:5], off offset:24
	s_wait_loadcnt 0x0
	v_readfirstlane_b32 s15, v8
	global_wb scope:SCOPE_SYS
	s_wait_storecnt 0x0
	s_wait_xcnt 0x0
	global_store_b64 v[6:7], v[8:9], off scope:SCOPE_SYS
	s_and_b32 m0, s15, 0xffffff
	s_sendmsg sendmsg(MSG_INTERRUPT)
.LBB6_513:                              ;   in Loop: Header=BB6_448 Depth=1
	s_wait_xcnt 0x0
	s_or_b32 exec_lo, exec_lo, s14
	v_mov_b32_e32 v1, v9
	s_delay_alu instid0(VALU_DEP_1)
	v_add_nc_u64_e32 v[4:5], v[26:27], v[0:1]
	s_branch .LBB6_517
.LBB6_514:                              ;   in Loop: Header=BB6_517 Depth=2
	s_wait_xcnt 0x0
	s_or_b32 exec_lo, exec_lo, s14
	s_delay_alu instid0(VALU_DEP_1)
	v_readfirstlane_b32 s14, v1
	s_cmp_eq_u32 s14, 0
	s_cbranch_scc1 .LBB6_516
; %bb.515:                              ;   in Loop: Header=BB6_517 Depth=2
	s_sleep 1
	s_cbranch_execnz .LBB6_517
	s_branch .LBB6_519
.LBB6_516:                              ;   in Loop: Header=BB6_448 Depth=1
	s_branch .LBB6_519
.LBB6_517:                              ;   Parent Loop BB6_448 Depth=1
                                        ; =>  This Inner Loop Header: Depth=2
	v_mov_b32_e32 v1, 1
	s_and_saveexec_b32 s14, s3
	s_cbranch_execz .LBB6_514
; %bb.518:                              ;   in Loop: Header=BB6_517 Depth=2
	global_load_b32 v1, v[32:33], off offset:20 scope:SCOPE_SYS
	s_wait_loadcnt 0x0
	global_inv scope:SCOPE_SYS
	v_and_b32_e32 v1, 1, v1
	s_branch .LBB6_514
.LBB6_519:                              ;   in Loop: Header=BB6_448 Depth=1
	global_load_b64 v[4:5], v[4:5], off
	s_wait_xcnt 0x0
	s_and_saveexec_b32 s14, s3
	s_cbranch_execz .LBB6_447
; %bb.520:                              ;   in Loop: Header=BB6_448 Depth=1
	s_clause 0x2
	global_load_b64 v[6:7], v9, s[4:5] offset:40
	global_load_b64 v[16:17], v9, s[4:5] offset:24 scope:SCOPE_SYS
	global_load_b64 v[12:13], v9, s[4:5]
	s_wait_loadcnt 0x2
	v_readfirstlane_b32 s16, v6
	v_readfirstlane_b32 s17, v7
	s_add_nc_u64 s[18:19], s[16:17], 1
	s_delay_alu instid0(SALU_CYCLE_1) | instskip(NEXT) | instid1(SALU_CYCLE_1)
	s_add_nc_u64 s[12:13], s[18:19], s[12:13]
	s_cmp_eq_u64 s[12:13], 0
	s_cselect_b32 s13, s19, s13
	s_cselect_b32 s12, s18, s12
	s_delay_alu instid0(SALU_CYCLE_1) | instskip(SKIP_1) | instid1(SALU_CYCLE_1)
	v_dual_mov_b32 v15, s13 :: v_dual_mov_b32 v14, s12
	s_and_b64 s[16:17], s[12:13], s[16:17]
	s_mul_u64 s[16:17], s[16:17], 24
	s_wait_loadcnt 0x0
	v_add_nc_u64_e32 v[6:7], s[16:17], v[12:13]
	global_store_b64 v[6:7], v[16:17], off
	global_wb scope:SCOPE_SYS
	s_wait_storecnt 0x0
	s_wait_xcnt 0x0
	global_atomic_cmpswap_b64 v[14:15], v9, v[14:17], s[4:5] offset:24 th:TH_ATOMIC_RETURN scope:SCOPE_SYS
	s_wait_loadcnt 0x0
	v_cmp_ne_u64_e32 vcc_lo, v[14:15], v[16:17]
	s_and_b32 exec_lo, exec_lo, vcc_lo
	s_cbranch_execz .LBB6_447
; %bb.521:                              ;   in Loop: Header=BB6_448 Depth=1
	s_mov_b32 s3, 0
.LBB6_522:                              ;   Parent Loop BB6_448 Depth=1
                                        ; =>  This Inner Loop Header: Depth=2
	v_dual_mov_b32 v12, s12 :: v_dual_mov_b32 v13, s13
	s_sleep 1
	global_store_b64 v[6:7], v[14:15], off
	global_wb scope:SCOPE_SYS
	s_wait_storecnt 0x0
	s_wait_xcnt 0x0
	global_atomic_cmpswap_b64 v[12:13], v9, v[12:15], s[4:5] offset:24 th:TH_ATOMIC_RETURN scope:SCOPE_SYS
	s_wait_loadcnt 0x0
	v_cmp_eq_u64_e32 vcc_lo, v[12:13], v[14:15]
	v_mov_b64_e32 v[14:15], v[12:13]
	s_or_b32 s3, vcc_lo, s3
	s_delay_alu instid0(SALU_CYCLE_1)
	s_and_not1_b32 exec_lo, exec_lo, s3
	s_cbranch_execnz .LBB6_522
	s_branch .LBB6_447
.LBB6_523:
	s_branch .LBB6_552
.LBB6_524:
                                        ; implicit-def: $vgpr4_vgpr5
	s_cbranch_execz .LBB6_552
; %bb.525:
	v_readfirstlane_b32 s3, v29
	s_wait_loadcnt 0x0
	v_mov_b64_e32 v[4:5], 0
	s_delay_alu instid0(VALU_DEP_2)
	v_cmp_eq_u32_e64 s3, s3, v29
	s_and_saveexec_b32 s6, s3
	s_cbranch_execz .LBB6_531
; %bb.526:
	v_mov_b32_e32 v1, 0
	s_mov_b32 s7, exec_lo
	global_load_b64 v[6:7], v1, s[4:5] offset:24 scope:SCOPE_SYS
	s_wait_loadcnt 0x0
	global_inv scope:SCOPE_SYS
	s_clause 0x1
	global_load_b64 v[4:5], v1, s[4:5] offset:40
	global_load_b64 v[8:9], v1, s[4:5]
	s_wait_loadcnt 0x1
	v_and_b32_e32 v4, v4, v6
	v_and_b32_e32 v5, v5, v7
	s_delay_alu instid0(VALU_DEP_1) | instskip(SKIP_1) | instid1(VALU_DEP_1)
	v_mul_u64_e32 v[4:5], 24, v[4:5]
	s_wait_loadcnt 0x0
	v_add_nc_u64_e32 v[4:5], v[8:9], v[4:5]
	global_load_b64 v[4:5], v[4:5], off scope:SCOPE_SYS
	s_wait_xcnt 0x0
	s_wait_loadcnt 0x0
	global_atomic_cmpswap_b64 v[4:5], v1, v[4:7], s[4:5] offset:24 th:TH_ATOMIC_RETURN scope:SCOPE_SYS
	s_wait_loadcnt 0x0
	global_inv scope:SCOPE_SYS
	s_wait_xcnt 0x0
	v_cmpx_ne_u64_e64 v[4:5], v[6:7]
	s_cbranch_execz .LBB6_530
; %bb.527:
	s_mov_b32 s8, 0
.LBB6_528:                              ; =>This Inner Loop Header: Depth=1
	s_sleep 1
	s_clause 0x1
	global_load_b64 v[8:9], v1, s[4:5] offset:40
	global_load_b64 v[10:11], v1, s[4:5]
	v_mov_b64_e32 v[6:7], v[4:5]
	s_wait_loadcnt 0x1
	s_delay_alu instid0(VALU_DEP_1) | instskip(NEXT) | instid1(VALU_DEP_2)
	v_and_b32_e32 v4, v8, v6
	v_and_b32_e32 v8, v9, v7
	s_wait_loadcnt 0x0
	s_delay_alu instid0(VALU_DEP_2) | instskip(NEXT) | instid1(VALU_DEP_1)
	v_mad_nc_u64_u32 v[4:5], v4, 24, v[10:11]
	v_mad_u32 v5, v8, 24, v5
	global_load_b64 v[4:5], v[4:5], off scope:SCOPE_SYS
	s_wait_xcnt 0x0
	s_wait_loadcnt 0x0
	global_atomic_cmpswap_b64 v[4:5], v1, v[4:7], s[4:5] offset:24 th:TH_ATOMIC_RETURN scope:SCOPE_SYS
	s_wait_loadcnt 0x0
	global_inv scope:SCOPE_SYS
	v_cmp_eq_u64_e32 vcc_lo, v[4:5], v[6:7]
	s_or_b32 s8, vcc_lo, s8
	s_wait_xcnt 0x0
	s_and_not1_b32 exec_lo, exec_lo, s8
	s_cbranch_execnz .LBB6_528
; %bb.529:
	s_or_b32 exec_lo, exec_lo, s8
.LBB6_530:
	s_delay_alu instid0(SALU_CYCLE_1)
	s_or_b32 exec_lo, exec_lo, s7
.LBB6_531:
	s_delay_alu instid0(SALU_CYCLE_1)
	s_or_b32 exec_lo, exec_lo, s6
	v_readfirstlane_b32 s6, v4
	v_mov_b32_e32 v1, 0
	v_readfirstlane_b32 s7, v5
	s_mov_b32 s8, exec_lo
	s_clause 0x1
	global_load_b64 v[10:11], v1, s[4:5] offset:40
	global_load_b128 v[6:9], v1, s[4:5]
	s_wait_loadcnt 0x1
	v_and_b32_e32 v4, s6, v10
	v_and_b32_e32 v5, s7, v11
	s_delay_alu instid0(VALU_DEP_1) | instskip(SKIP_1) | instid1(VALU_DEP_1)
	v_mul_u64_e32 v[10:11], 24, v[4:5]
	s_wait_loadcnt 0x0
	v_add_nc_u64_e32 v[10:11], v[6:7], v[10:11]
	s_wait_xcnt 0x0
	s_and_saveexec_b32 s9, s3
	s_cbranch_execz .LBB6_533
; %bb.532:
	v_mov_b64_e32 v[14:15], 0x100000002
	v_dual_mov_b32 v12, s8 :: v_dual_mov_b32 v13, v1
	global_store_b128 v[10:11], v[12:15], off offset:8
.LBB6_533:
	s_wait_xcnt 0x0
	s_or_b32 exec_lo, exec_lo, s9
	v_lshlrev_b64_e32 v[4:5], 12, v[4:5]
	s_mov_b32 s8, 0
	v_and_or_b32 v2, 0xffffff1f, v2, 32
	s_mov_b32 s10, s8
	s_mov_b32 s11, s8
	;; [unrolled: 1-line block ×3, first 2 shown]
	v_mov_b64_e32 v[14:15], s[10:11]
	v_add_nc_u64_e32 v[8:9], v[8:9], v[4:5]
	v_mov_b64_e32 v[12:13], s[8:9]
	v_dual_mov_b32 v4, v1 :: v_dual_mov_b32 v5, v1
	s_delay_alu instid0(VALU_DEP_3) | instskip(NEXT) | instid1(VALU_DEP_4)
	v_readfirstlane_b32 s12, v8
	v_readfirstlane_b32 s13, v9
	s_clause 0x3
	global_store_b128 v0, v[2:5], s[12:13]
	global_store_b128 v0, v[12:15], s[12:13] offset:16
	global_store_b128 v0, v[12:15], s[12:13] offset:32
	;; [unrolled: 1-line block ×3, first 2 shown]
	s_wait_xcnt 0x0
	s_and_saveexec_b32 s8, s3
	s_cbranch_execz .LBB6_541
; %bb.534:
	v_dual_mov_b32 v12, 0 :: v_dual_mov_b32 v15, s7
	s_mov_b32 s9, exec_lo
	s_clause 0x1
	global_load_b64 v[16:17], v12, s[4:5] offset:32 scope:SCOPE_SYS
	global_load_b64 v[2:3], v12, s[4:5] offset:40
	s_wait_loadcnt 0x0
	v_dual_mov_b32 v14, s6 :: v_dual_bitop2_b32 v3, s7, v3 bitop3:0x40
	v_and_b32_e32 v2, s6, v2
	s_delay_alu instid0(VALU_DEP_1) | instskip(NEXT) | instid1(VALU_DEP_1)
	v_mul_u64_e32 v[2:3], 24, v[2:3]
	v_add_nc_u64_e32 v[6:7], v[6:7], v[2:3]
	global_store_b64 v[6:7], v[16:17], off
	global_wb scope:SCOPE_SYS
	s_wait_storecnt 0x0
	s_wait_xcnt 0x0
	global_atomic_cmpswap_b64 v[4:5], v12, v[14:17], s[4:5] offset:32 th:TH_ATOMIC_RETURN scope:SCOPE_SYS
	s_wait_loadcnt 0x0
	v_cmpx_ne_u64_e64 v[4:5], v[16:17]
	s_cbranch_execz .LBB6_537
; %bb.535:
	s_mov_b32 s10, 0
.LBB6_536:                              ; =>This Inner Loop Header: Depth=1
	v_dual_mov_b32 v2, s6 :: v_dual_mov_b32 v3, s7
	s_sleep 1
	global_store_b64 v[6:7], v[4:5], off
	global_wb scope:SCOPE_SYS
	s_wait_storecnt 0x0
	s_wait_xcnt 0x0
	global_atomic_cmpswap_b64 v[2:3], v12, v[2:5], s[4:5] offset:32 th:TH_ATOMIC_RETURN scope:SCOPE_SYS
	s_wait_loadcnt 0x0
	v_cmp_eq_u64_e32 vcc_lo, v[2:3], v[4:5]
	v_mov_b64_e32 v[4:5], v[2:3]
	s_or_b32 s10, vcc_lo, s10
	s_delay_alu instid0(SALU_CYCLE_1)
	s_and_not1_b32 exec_lo, exec_lo, s10
	s_cbranch_execnz .LBB6_536
.LBB6_537:
	s_or_b32 exec_lo, exec_lo, s9
	v_mov_b32_e32 v5, 0
	s_mov_b32 s10, exec_lo
	s_mov_b32 s9, exec_lo
	v_mbcnt_lo_u32_b32 v4, s10, 0
	global_load_b64 v[2:3], v5, s[4:5] offset:16
	s_wait_xcnt 0x0
	v_cmpx_eq_u32_e32 0, v4
	s_cbranch_execz .LBB6_539
; %bb.538:
	s_bcnt1_i32_b32 s10, s10
	s_delay_alu instid0(SALU_CYCLE_1)
	v_mov_b32_e32 v4, s10
	global_wb scope:SCOPE_SYS
	s_wait_loadcnt 0x0
	s_wait_storecnt 0x0
	global_atomic_add_u64 v[2:3], v[4:5], off offset:8 scope:SCOPE_SYS
.LBB6_539:
	s_wait_xcnt 0x0
	s_or_b32 exec_lo, exec_lo, s9
	s_wait_loadcnt 0x0
	global_load_b64 v[4:5], v[2:3], off offset:16
	s_wait_loadcnt 0x0
	v_cmp_eq_u64_e32 vcc_lo, 0, v[4:5]
	s_cbranch_vccnz .LBB6_541
; %bb.540:
	global_load_b32 v2, v[2:3], off offset:24
	s_wait_xcnt 0x0
	v_mov_b32_e32 v3, 0
	s_wait_loadcnt 0x0
	v_readfirstlane_b32 s9, v2
	global_wb scope:SCOPE_SYS
	s_wait_storecnt 0x0
	global_store_b64 v[4:5], v[2:3], off scope:SCOPE_SYS
	s_and_b32 m0, s9, 0xffffff
	s_sendmsg sendmsg(MSG_INTERRUPT)
.LBB6_541:
	s_wait_xcnt 0x0
	s_or_b32 exec_lo, exec_lo, s8
	v_add_nc_u64_e32 v[2:3], v[8:9], v[0:1]
	s_branch .LBB6_545
.LBB6_542:                              ;   in Loop: Header=BB6_545 Depth=1
	s_wait_xcnt 0x0
	s_or_b32 exec_lo, exec_lo, s8
	s_delay_alu instid0(VALU_DEP_1)
	v_readfirstlane_b32 s8, v1
	s_cmp_eq_u32 s8, 0
	s_cbranch_scc1 .LBB6_544
; %bb.543:                              ;   in Loop: Header=BB6_545 Depth=1
	s_sleep 1
	s_cbranch_execnz .LBB6_545
	s_branch .LBB6_547
.LBB6_544:
	s_branch .LBB6_547
.LBB6_545:                              ; =>This Inner Loop Header: Depth=1
	v_mov_b32_e32 v1, 1
	s_and_saveexec_b32 s8, s3
	s_cbranch_execz .LBB6_542
; %bb.546:                              ;   in Loop: Header=BB6_545 Depth=1
	global_load_b32 v1, v[10:11], off offset:20 scope:SCOPE_SYS
	s_wait_loadcnt 0x0
	global_inv scope:SCOPE_SYS
	v_and_b32_e32 v1, 1, v1
	s_branch .LBB6_542
.LBB6_547:
	global_load_b64 v[4:5], v[2:3], off
	s_wait_xcnt 0x0
	s_and_saveexec_b32 s8, s3
	s_cbranch_execz .LBB6_551
; %bb.548:
	v_mov_b32_e32 v1, 0
	s_clause 0x2
	global_load_b64 v[2:3], v1, s[4:5] offset:40
	global_load_b64 v[10:11], v1, s[4:5] offset:24 scope:SCOPE_SYS
	global_load_b64 v[6:7], v1, s[4:5]
	s_wait_loadcnt 0x2
	v_readfirstlane_b32 s10, v2
	v_readfirstlane_b32 s11, v3
	s_add_nc_u64 s[12:13], s[10:11], 1
	s_delay_alu instid0(SALU_CYCLE_1) | instskip(NEXT) | instid1(SALU_CYCLE_1)
	s_add_nc_u64 s[6:7], s[12:13], s[6:7]
	s_cmp_eq_u64 s[6:7], 0
	s_cselect_b32 s7, s13, s7
	s_cselect_b32 s6, s12, s6
	v_mov_b32_e32 v9, s7
	s_and_b64 s[10:11], s[6:7], s[10:11]
	v_mov_b32_e32 v8, s6
	s_mul_u64 s[10:11], s[10:11], 24
	s_wait_loadcnt 0x0
	v_add_nc_u64_e32 v[2:3], s[10:11], v[6:7]
	global_store_b64 v[2:3], v[10:11], off
	global_wb scope:SCOPE_SYS
	s_wait_storecnt 0x0
	s_wait_xcnt 0x0
	global_atomic_cmpswap_b64 v[8:9], v1, v[8:11], s[4:5] offset:24 th:TH_ATOMIC_RETURN scope:SCOPE_SYS
	s_wait_loadcnt 0x0
	v_cmp_ne_u64_e32 vcc_lo, v[8:9], v[10:11]
	s_and_b32 exec_lo, exec_lo, vcc_lo
	s_cbranch_execz .LBB6_551
; %bb.549:
	s_mov_b32 s3, 0
.LBB6_550:                              ; =>This Inner Loop Header: Depth=1
	v_dual_mov_b32 v6, s6 :: v_dual_mov_b32 v7, s7
	s_sleep 1
	global_store_b64 v[2:3], v[8:9], off
	global_wb scope:SCOPE_SYS
	s_wait_storecnt 0x0
	s_wait_xcnt 0x0
	global_atomic_cmpswap_b64 v[6:7], v1, v[6:9], s[4:5] offset:24 th:TH_ATOMIC_RETURN scope:SCOPE_SYS
	s_wait_loadcnt 0x0
	v_cmp_eq_u64_e32 vcc_lo, v[6:7], v[8:9]
	v_mov_b64_e32 v[8:9], v[6:7]
	s_or_b32 s3, vcc_lo, s3
	s_delay_alu instid0(SALU_CYCLE_1)
	s_and_not1_b32 exec_lo, exec_lo, s3
	s_cbranch_execnz .LBB6_550
.LBB6_551:
	s_or_b32 exec_lo, exec_lo, s8
.LBB6_552:
	v_readfirstlane_b32 s3, v29
	s_wait_loadcnt 0x0
	v_mov_b64_e32 v[2:3], 0
	s_delay_alu instid0(VALU_DEP_2)
	v_cmp_eq_u32_e64 s3, s3, v29
	s_and_saveexec_b32 s6, s3
	s_cbranch_execz .LBB6_558
; %bb.553:
	v_mov_b32_e32 v1, 0
	s_mov_b32 s7, exec_lo
	global_load_b64 v[8:9], v1, s[4:5] offset:24 scope:SCOPE_SYS
	s_wait_loadcnt 0x0
	global_inv scope:SCOPE_SYS
	s_clause 0x1
	global_load_b64 v[2:3], v1, s[4:5] offset:40
	global_load_b64 v[6:7], v1, s[4:5]
	s_wait_loadcnt 0x1
	v_and_b32_e32 v2, v2, v8
	v_and_b32_e32 v3, v3, v9
	s_delay_alu instid0(VALU_DEP_1) | instskip(SKIP_1) | instid1(VALU_DEP_1)
	v_mul_u64_e32 v[2:3], 24, v[2:3]
	s_wait_loadcnt 0x0
	v_add_nc_u64_e32 v[2:3], v[6:7], v[2:3]
	global_load_b64 v[6:7], v[2:3], off scope:SCOPE_SYS
	s_wait_xcnt 0x0
	s_wait_loadcnt 0x0
	global_atomic_cmpswap_b64 v[2:3], v1, v[6:9], s[4:5] offset:24 th:TH_ATOMIC_RETURN scope:SCOPE_SYS
	s_wait_loadcnt 0x0
	global_inv scope:SCOPE_SYS
	s_wait_xcnt 0x0
	v_cmpx_ne_u64_e64 v[2:3], v[8:9]
	s_cbranch_execz .LBB6_557
; %bb.554:
	s_mov_b32 s8, 0
.LBB6_555:                              ; =>This Inner Loop Header: Depth=1
	s_sleep 1
	s_clause 0x1
	global_load_b64 v[6:7], v1, s[4:5] offset:40
	global_load_b64 v[10:11], v1, s[4:5]
	v_mov_b64_e32 v[8:9], v[2:3]
	s_wait_loadcnt 0x1
	s_delay_alu instid0(VALU_DEP_1) | instskip(NEXT) | instid1(VALU_DEP_2)
	v_and_b32_e32 v2, v6, v8
	v_and_b32_e32 v6, v7, v9
	s_wait_loadcnt 0x0
	s_delay_alu instid0(VALU_DEP_2) | instskip(NEXT) | instid1(VALU_DEP_1)
	v_mad_nc_u64_u32 v[2:3], v2, 24, v[10:11]
	v_mad_u32 v3, v6, 24, v3
	global_load_b64 v[6:7], v[2:3], off scope:SCOPE_SYS
	s_wait_xcnt 0x0
	s_wait_loadcnt 0x0
	global_atomic_cmpswap_b64 v[2:3], v1, v[6:9], s[4:5] offset:24 th:TH_ATOMIC_RETURN scope:SCOPE_SYS
	s_wait_loadcnt 0x0
	global_inv scope:SCOPE_SYS
	v_cmp_eq_u64_e32 vcc_lo, v[2:3], v[8:9]
	s_or_b32 s8, vcc_lo, s8
	s_wait_xcnt 0x0
	s_and_not1_b32 exec_lo, exec_lo, s8
	s_cbranch_execnz .LBB6_555
; %bb.556:
	s_or_b32 exec_lo, exec_lo, s8
.LBB6_557:
	s_delay_alu instid0(SALU_CYCLE_1)
	s_or_b32 exec_lo, exec_lo, s7
.LBB6_558:
	s_delay_alu instid0(SALU_CYCLE_1)
	s_or_b32 exec_lo, exec_lo, s6
	v_readfirstlane_b32 s6, v2
	v_mov_b32_e32 v1, 0
	v_readfirstlane_b32 s7, v3
	s_mov_b32 s8, exec_lo
	s_clause 0x1
	global_load_b64 v[6:7], v1, s[4:5] offset:40
	global_load_b128 v[8:11], v1, s[4:5]
	s_wait_loadcnt 0x1
	v_and_b32_e32 v2, s6, v6
	v_and_b32_e32 v3, s7, v7
	s_delay_alu instid0(VALU_DEP_1) | instskip(SKIP_1) | instid1(VALU_DEP_1)
	v_mul_u64_e32 v[6:7], 24, v[2:3]
	s_wait_loadcnt 0x0
	v_add_nc_u64_e32 v[12:13], v[8:9], v[6:7]
	s_wait_xcnt 0x0
	s_and_saveexec_b32 s9, s3
	s_cbranch_execz .LBB6_560
; %bb.559:
	v_mov_b64_e32 v[16:17], 0x100000002
	v_dual_mov_b32 v14, s8 :: v_dual_mov_b32 v15, v1
	global_store_b128 v[12:13], v[14:17], off offset:8
.LBB6_560:
	s_wait_xcnt 0x0
	s_or_b32 exec_lo, exec_lo, s9
	v_lshlrev_b64_e32 v[2:3], 12, v[2:3]
	s_mov_b32 s8, 0
	v_and_or_b32 v4, 0xffffff1f, v4, 32
	s_mov_b32 s10, s8
	s_mov_b32 s11, s8
	;; [unrolled: 1-line block ×3, first 2 shown]
	v_mov_b64_e32 v[16:17], s[10:11]
	v_add_nc_u64_e32 v[10:11], v[10:11], v[2:3]
	v_mov_b64_e32 v[14:15], s[8:9]
	v_dual_mov_b32 v6, 31 :: v_dual_mov_b32 v7, v1
	s_delay_alu instid0(VALU_DEP_3) | instskip(NEXT) | instid1(VALU_DEP_4)
	v_readfirstlane_b32 s12, v10
	v_readfirstlane_b32 s13, v11
	s_clause 0x3
	global_store_b128 v0, v[4:7], s[12:13]
	global_store_b128 v0, v[14:17], s[12:13] offset:16
	global_store_b128 v0, v[14:17], s[12:13] offset:32
	;; [unrolled: 1-line block ×3, first 2 shown]
	s_wait_xcnt 0x0
	s_and_saveexec_b32 s8, s3
	s_cbranch_execz .LBB6_568
; %bb.561:
	v_dual_mov_b32 v14, 0 :: v_dual_mov_b32 v17, s7
	s_mov_b32 s9, exec_lo
	s_clause 0x1
	global_load_b64 v[18:19], v14, s[4:5] offset:32 scope:SCOPE_SYS
	global_load_b64 v[2:3], v14, s[4:5] offset:40
	s_wait_loadcnt 0x0
	v_dual_mov_b32 v16, s6 :: v_dual_bitop2_b32 v3, s7, v3 bitop3:0x40
	v_and_b32_e32 v2, s6, v2
	s_delay_alu instid0(VALU_DEP_1) | instskip(NEXT) | instid1(VALU_DEP_1)
	v_mul_u64_e32 v[2:3], 24, v[2:3]
	v_add_nc_u64_e32 v[6:7], v[8:9], v[2:3]
	global_store_b64 v[6:7], v[18:19], off
	global_wb scope:SCOPE_SYS
	s_wait_storecnt 0x0
	s_wait_xcnt 0x0
	global_atomic_cmpswap_b64 v[4:5], v14, v[16:19], s[4:5] offset:32 th:TH_ATOMIC_RETURN scope:SCOPE_SYS
	s_wait_loadcnt 0x0
	v_cmpx_ne_u64_e64 v[4:5], v[18:19]
	s_cbranch_execz .LBB6_564
; %bb.562:
	s_mov_b32 s10, 0
.LBB6_563:                              ; =>This Inner Loop Header: Depth=1
	v_dual_mov_b32 v2, s6 :: v_dual_mov_b32 v3, s7
	s_sleep 1
	global_store_b64 v[6:7], v[4:5], off
	global_wb scope:SCOPE_SYS
	s_wait_storecnt 0x0
	s_wait_xcnt 0x0
	global_atomic_cmpswap_b64 v[2:3], v14, v[2:5], s[4:5] offset:32 th:TH_ATOMIC_RETURN scope:SCOPE_SYS
	s_wait_loadcnt 0x0
	v_cmp_eq_u64_e32 vcc_lo, v[2:3], v[4:5]
	v_mov_b64_e32 v[4:5], v[2:3]
	s_or_b32 s10, vcc_lo, s10
	s_delay_alu instid0(SALU_CYCLE_1)
	s_and_not1_b32 exec_lo, exec_lo, s10
	s_cbranch_execnz .LBB6_563
.LBB6_564:
	s_or_b32 exec_lo, exec_lo, s9
	v_mov_b32_e32 v5, 0
	s_mov_b32 s10, exec_lo
	s_mov_b32 s9, exec_lo
	v_mbcnt_lo_u32_b32 v4, s10, 0
	global_load_b64 v[2:3], v5, s[4:5] offset:16
	s_wait_xcnt 0x0
	v_cmpx_eq_u32_e32 0, v4
	s_cbranch_execz .LBB6_566
; %bb.565:
	s_bcnt1_i32_b32 s10, s10
	s_delay_alu instid0(SALU_CYCLE_1)
	v_mov_b32_e32 v4, s10
	global_wb scope:SCOPE_SYS
	s_wait_loadcnt 0x0
	s_wait_storecnt 0x0
	global_atomic_add_u64 v[2:3], v[4:5], off offset:8 scope:SCOPE_SYS
.LBB6_566:
	s_wait_xcnt 0x0
	s_or_b32 exec_lo, exec_lo, s9
	s_wait_loadcnt 0x0
	global_load_b64 v[4:5], v[2:3], off offset:16
	s_wait_loadcnt 0x0
	v_cmp_eq_u64_e32 vcc_lo, 0, v[4:5]
	s_cbranch_vccnz .LBB6_568
; %bb.567:
	global_load_b32 v2, v[2:3], off offset:24
	s_wait_xcnt 0x0
	v_mov_b32_e32 v3, 0
	s_wait_loadcnt 0x0
	v_readfirstlane_b32 s9, v2
	global_wb scope:SCOPE_SYS
	s_wait_storecnt 0x0
	global_store_b64 v[4:5], v[2:3], off scope:SCOPE_SYS
	s_and_b32 m0, s9, 0xffffff
	s_sendmsg sendmsg(MSG_INTERRUPT)
.LBB6_568:
	s_wait_xcnt 0x0
	s_or_b32 exec_lo, exec_lo, s8
	v_add_nc_u64_e32 v[2:3], v[10:11], v[0:1]
	s_branch .LBB6_572
.LBB6_569:                              ;   in Loop: Header=BB6_572 Depth=1
	s_wait_xcnt 0x0
	s_or_b32 exec_lo, exec_lo, s8
	s_delay_alu instid0(VALU_DEP_1)
	v_readfirstlane_b32 s8, v1
	s_cmp_eq_u32 s8, 0
	s_cbranch_scc1 .LBB6_571
; %bb.570:                              ;   in Loop: Header=BB6_572 Depth=1
	s_sleep 1
	s_cbranch_execnz .LBB6_572
	s_branch .LBB6_574
.LBB6_571:
	s_branch .LBB6_574
.LBB6_572:                              ; =>This Inner Loop Header: Depth=1
	v_mov_b32_e32 v1, 1
	s_and_saveexec_b32 s8, s3
	s_cbranch_execz .LBB6_569
; %bb.573:                              ;   in Loop: Header=BB6_572 Depth=1
	global_load_b32 v1, v[12:13], off offset:20 scope:SCOPE_SYS
	s_wait_loadcnt 0x0
	global_inv scope:SCOPE_SYS
	v_and_b32_e32 v1, 1, v1
	s_branch .LBB6_569
.LBB6_574:
	global_load_b64 v[2:3], v[2:3], off
	s_wait_xcnt 0x0
	s_and_saveexec_b32 s8, s3
	s_cbranch_execz .LBB6_578
; %bb.575:
	v_mov_b32_e32 v1, 0
	s_clause 0x2
	global_load_b64 v[4:5], v1, s[4:5] offset:40
	global_load_b64 v[12:13], v1, s[4:5] offset:24 scope:SCOPE_SYS
	global_load_b64 v[6:7], v1, s[4:5]
	s_wait_loadcnt 0x2
	v_readfirstlane_b32 s10, v4
	v_readfirstlane_b32 s11, v5
	s_add_nc_u64 s[12:13], s[10:11], 1
	s_delay_alu instid0(SALU_CYCLE_1) | instskip(NEXT) | instid1(SALU_CYCLE_1)
	s_add_nc_u64 s[6:7], s[12:13], s[6:7]
	s_cmp_eq_u64 s[6:7], 0
	s_cselect_b32 s7, s13, s7
	s_cselect_b32 s6, s12, s6
	v_mov_b32_e32 v11, s7
	s_and_b64 s[10:11], s[6:7], s[10:11]
	v_mov_b32_e32 v10, s6
	s_mul_u64 s[10:11], s[10:11], 24
	s_wait_loadcnt 0x0
	v_add_nc_u64_e32 v[8:9], s[10:11], v[6:7]
	global_store_b64 v[8:9], v[12:13], off
	global_wb scope:SCOPE_SYS
	s_wait_storecnt 0x0
	s_wait_xcnt 0x0
	global_atomic_cmpswap_b64 v[6:7], v1, v[10:13], s[4:5] offset:24 th:TH_ATOMIC_RETURN scope:SCOPE_SYS
	s_wait_loadcnt 0x0
	v_cmp_ne_u64_e32 vcc_lo, v[6:7], v[12:13]
	s_and_b32 exec_lo, exec_lo, vcc_lo
	s_cbranch_execz .LBB6_578
; %bb.576:
	s_mov_b32 s3, 0
.LBB6_577:                              ; =>This Inner Loop Header: Depth=1
	v_dual_mov_b32 v4, s6 :: v_dual_mov_b32 v5, s7
	s_sleep 1
	global_store_b64 v[8:9], v[6:7], off
	global_wb scope:SCOPE_SYS
	s_wait_storecnt 0x0
	s_wait_xcnt 0x0
	global_atomic_cmpswap_b64 v[4:5], v1, v[4:7], s[4:5] offset:24 th:TH_ATOMIC_RETURN scope:SCOPE_SYS
	s_wait_loadcnt 0x0
	v_cmp_eq_u64_e32 vcc_lo, v[4:5], v[6:7]
	v_mov_b64_e32 v[6:7], v[4:5]
	s_or_b32 s3, vcc_lo, s3
	s_delay_alu instid0(SALU_CYCLE_1)
	s_and_not1_b32 exec_lo, exec_lo, s3
	s_cbranch_execnz .LBB6_577
.LBB6_578:
	s_or_b32 exec_lo, exec_lo, s8
	v_readfirstlane_b32 s3, v29
	v_mov_b64_e32 v[4:5], 0
	s_delay_alu instid0(VALU_DEP_2)
	v_cmp_eq_u32_e64 s3, s3, v29
	s_and_saveexec_b32 s6, s3
	s_cbranch_execz .LBB6_584
; %bb.579:
	v_mov_b32_e32 v1, 0
	s_mov_b32 s7, exec_lo
	global_load_b64 v[6:7], v1, s[4:5] offset:24 scope:SCOPE_SYS
	s_wait_loadcnt 0x0
	global_inv scope:SCOPE_SYS
	s_clause 0x1
	global_load_b64 v[4:5], v1, s[4:5] offset:40
	global_load_b64 v[8:9], v1, s[4:5]
	s_wait_loadcnt 0x1
	v_and_b32_e32 v4, v4, v6
	v_and_b32_e32 v5, v5, v7
	s_delay_alu instid0(VALU_DEP_1) | instskip(SKIP_1) | instid1(VALU_DEP_1)
	v_mul_u64_e32 v[4:5], 24, v[4:5]
	s_wait_loadcnt 0x0
	v_add_nc_u64_e32 v[4:5], v[8:9], v[4:5]
	global_load_b64 v[4:5], v[4:5], off scope:SCOPE_SYS
	s_wait_xcnt 0x0
	s_wait_loadcnt 0x0
	global_atomic_cmpswap_b64 v[4:5], v1, v[4:7], s[4:5] offset:24 th:TH_ATOMIC_RETURN scope:SCOPE_SYS
	s_wait_loadcnt 0x0
	global_inv scope:SCOPE_SYS
	s_wait_xcnt 0x0
	v_cmpx_ne_u64_e64 v[4:5], v[6:7]
	s_cbranch_execz .LBB6_583
; %bb.580:
	s_mov_b32 s8, 0
.LBB6_581:                              ; =>This Inner Loop Header: Depth=1
	s_sleep 1
	s_clause 0x1
	global_load_b64 v[8:9], v1, s[4:5] offset:40
	global_load_b64 v[10:11], v1, s[4:5]
	v_mov_b64_e32 v[6:7], v[4:5]
	s_wait_loadcnt 0x1
	s_delay_alu instid0(VALU_DEP_1) | instskip(NEXT) | instid1(VALU_DEP_2)
	v_and_b32_e32 v4, v8, v6
	v_and_b32_e32 v8, v9, v7
	s_wait_loadcnt 0x0
	s_delay_alu instid0(VALU_DEP_2) | instskip(NEXT) | instid1(VALU_DEP_1)
	v_mad_nc_u64_u32 v[4:5], v4, 24, v[10:11]
	v_mad_u32 v5, v8, 24, v5
	global_load_b64 v[4:5], v[4:5], off scope:SCOPE_SYS
	s_wait_xcnt 0x0
	s_wait_loadcnt 0x0
	global_atomic_cmpswap_b64 v[4:5], v1, v[4:7], s[4:5] offset:24 th:TH_ATOMIC_RETURN scope:SCOPE_SYS
	s_wait_loadcnt 0x0
	global_inv scope:SCOPE_SYS
	v_cmp_eq_u64_e32 vcc_lo, v[4:5], v[6:7]
	s_or_b32 s8, vcc_lo, s8
	s_wait_xcnt 0x0
	s_and_not1_b32 exec_lo, exec_lo, s8
	s_cbranch_execnz .LBB6_581
; %bb.582:
	s_or_b32 exec_lo, exec_lo, s8
.LBB6_583:
	s_delay_alu instid0(SALU_CYCLE_1)
	s_or_b32 exec_lo, exec_lo, s7
.LBB6_584:
	s_delay_alu instid0(SALU_CYCLE_1)
	s_or_b32 exec_lo, exec_lo, s6
	v_readfirstlane_b32 s6, v4
	v_mov_b32_e32 v1, 0
	v_readfirstlane_b32 s7, v5
	s_mov_b32 s8, exec_lo
	s_clause 0x1
	global_load_b64 v[10:11], v1, s[4:5] offset:40
	global_load_b128 v[6:9], v1, s[4:5]
	s_wait_loadcnt 0x1
	v_and_b32_e32 v4, s6, v10
	v_and_b32_e32 v5, s7, v11
	s_delay_alu instid0(VALU_DEP_1) | instskip(SKIP_1) | instid1(VALU_DEP_1)
	v_mul_u64_e32 v[10:11], 24, v[4:5]
	s_wait_loadcnt 0x0
	v_add_nc_u64_e32 v[10:11], v[6:7], v[10:11]
	s_wait_xcnt 0x0
	s_and_saveexec_b32 s9, s3
	s_cbranch_execz .LBB6_586
; %bb.585:
	v_mov_b64_e32 v[14:15], 0x100000002
	v_dual_mov_b32 v12, s8 :: v_dual_mov_b32 v13, v1
	global_store_b128 v[10:11], v[12:15], off offset:8
.LBB6_586:
	s_wait_xcnt 0x0
	s_or_b32 exec_lo, exec_lo, s9
	v_lshlrev_b64_e32 v[12:13], 12, v[4:5]
	s_mov_b32 s8, 0
	v_dual_cndmask_b32 v4, -1, v31, s2 :: v_dual_mov_b32 v5, v1
	s_mov_b32 s10, s8
	s_mov_b32 s11, s8
	;; [unrolled: 1-line block ×3, first 2 shown]
	s_delay_alu instid0(VALU_DEP_2) | instskip(SKIP_3) | instid1(VALU_DEP_4)
	v_add_nc_u64_e32 v[12:13], v[8:9], v[12:13]
	v_mov_b64_e32 v[16:17], s[10:11]
	v_mov_b64_e32 v[14:15], s[8:9]
	v_and_or_b32 v2, 0xffffff1f, v2, 32
	v_readfirstlane_b32 s12, v12
	v_readfirstlane_b32 s13, v13
	s_clause 0x3
	global_store_b128 v0, v[2:5], s[12:13]
	global_store_b128 v0, v[14:17], s[12:13] offset:16
	global_store_b128 v0, v[14:17], s[12:13] offset:32
	;; [unrolled: 1-line block ×3, first 2 shown]
	s_wait_xcnt 0x0
	s_and_saveexec_b32 s2, s3
	s_cbranch_execz .LBB6_594
; %bb.587:
	v_dual_mov_b32 v5, 0 :: v_dual_mov_b32 v15, s7
	s_mov_b32 s8, exec_lo
	s_clause 0x1
	global_load_b64 v[16:17], v5, s[4:5] offset:32 scope:SCOPE_SYS
	global_load_b64 v[2:3], v5, s[4:5] offset:40
	s_wait_loadcnt 0x0
	v_dual_mov_b32 v14, s6 :: v_dual_bitop2_b32 v3, s7, v3 bitop3:0x40
	v_and_b32_e32 v2, s6, v2
	s_delay_alu instid0(VALU_DEP_1) | instskip(NEXT) | instid1(VALU_DEP_1)
	v_mul_u64_e32 v[2:3], 24, v[2:3]
	v_add_nc_u64_e32 v[2:3], v[6:7], v[2:3]
	global_store_b64 v[2:3], v[16:17], off
	global_wb scope:SCOPE_SYS
	s_wait_storecnt 0x0
	s_wait_xcnt 0x0
	global_atomic_cmpswap_b64 v[8:9], v5, v[14:17], s[4:5] offset:32 th:TH_ATOMIC_RETURN scope:SCOPE_SYS
	s_wait_loadcnt 0x0
	v_cmpx_ne_u64_e64 v[8:9], v[16:17]
	s_cbranch_execz .LBB6_590
; %bb.588:
	s_mov_b32 s9, 0
.LBB6_589:                              ; =>This Inner Loop Header: Depth=1
	v_dual_mov_b32 v6, s6 :: v_dual_mov_b32 v7, s7
	s_sleep 1
	global_store_b64 v[2:3], v[8:9], off
	global_wb scope:SCOPE_SYS
	s_wait_storecnt 0x0
	s_wait_xcnt 0x0
	global_atomic_cmpswap_b64 v[6:7], v5, v[6:9], s[4:5] offset:32 th:TH_ATOMIC_RETURN scope:SCOPE_SYS
	s_wait_loadcnt 0x0
	v_cmp_eq_u64_e32 vcc_lo, v[6:7], v[8:9]
	v_mov_b64_e32 v[8:9], v[6:7]
	s_or_b32 s9, vcc_lo, s9
	s_delay_alu instid0(SALU_CYCLE_1)
	s_and_not1_b32 exec_lo, exec_lo, s9
	s_cbranch_execnz .LBB6_589
.LBB6_590:
	s_or_b32 exec_lo, exec_lo, s8
	v_mov_b32_e32 v7, 0
	s_mov_b32 s9, exec_lo
	s_mov_b32 s8, exec_lo
	v_mbcnt_lo_u32_b32 v5, s9, 0
	global_load_b64 v[2:3], v7, s[4:5] offset:16
	s_wait_xcnt 0x0
	v_cmpx_eq_u32_e32 0, v5
	s_cbranch_execz .LBB6_592
; %bb.591:
	s_bcnt1_i32_b32 s9, s9
	s_delay_alu instid0(SALU_CYCLE_1)
	v_mov_b32_e32 v6, s9
	global_wb scope:SCOPE_SYS
	s_wait_loadcnt 0x0
	s_wait_storecnt 0x0
	global_atomic_add_u64 v[2:3], v[6:7], off offset:8 scope:SCOPE_SYS
.LBB6_592:
	s_wait_xcnt 0x0
	s_or_b32 exec_lo, exec_lo, s8
	s_wait_loadcnt 0x0
	global_load_b64 v[6:7], v[2:3], off offset:16
	s_wait_loadcnt 0x0
	v_cmp_eq_u64_e32 vcc_lo, 0, v[6:7]
	s_cbranch_vccnz .LBB6_594
; %bb.593:
	global_load_b32 v2, v[2:3], off offset:24
	s_wait_xcnt 0x0
	v_mov_b32_e32 v3, 0
	s_wait_loadcnt 0x0
	v_readfirstlane_b32 s8, v2
	global_wb scope:SCOPE_SYS
	s_wait_storecnt 0x0
	global_store_b64 v[6:7], v[2:3], off scope:SCOPE_SYS
	s_and_b32 m0, s8, 0xffffff
	s_sendmsg sendmsg(MSG_INTERRUPT)
.LBB6_594:
	s_wait_xcnt 0x0
	s_or_b32 exec_lo, exec_lo, s2
	v_add_nc_u64_e32 v[2:3], v[12:13], v[0:1]
	s_branch .LBB6_598
.LBB6_595:                              ;   in Loop: Header=BB6_598 Depth=1
	s_wait_xcnt 0x0
	s_or_b32 exec_lo, exec_lo, s2
	s_delay_alu instid0(VALU_DEP_1)
	v_readfirstlane_b32 s2, v1
	s_cmp_eq_u32 s2, 0
	s_cbranch_scc1 .LBB6_597
; %bb.596:                              ;   in Loop: Header=BB6_598 Depth=1
	s_sleep 1
	s_cbranch_execnz .LBB6_598
	s_branch .LBB6_600
.LBB6_597:
	s_branch .LBB6_600
.LBB6_598:                              ; =>This Inner Loop Header: Depth=1
	v_mov_b32_e32 v1, 1
	s_and_saveexec_b32 s2, s3
	s_cbranch_execz .LBB6_595
; %bb.599:                              ;   in Loop: Header=BB6_598 Depth=1
	global_load_b32 v1, v[10:11], off offset:20 scope:SCOPE_SYS
	s_wait_loadcnt 0x0
	global_inv scope:SCOPE_SYS
	v_and_b32_e32 v1, 1, v1
	s_branch .LBB6_595
.LBB6_600:
	global_load_b64 v[6:7], v[2:3], off
	s_wait_xcnt 0x0
	s_and_saveexec_b32 s8, s3
	s_cbranch_execz .LBB6_604
; %bb.601:
	v_mov_b32_e32 v1, 0
	s_clause 0x2
	global_load_b64 v[2:3], v1, s[4:5] offset:40
	global_load_b64 v[12:13], v1, s[4:5] offset:24 scope:SCOPE_SYS
	global_load_b64 v[8:9], v1, s[4:5]
	s_wait_loadcnt 0x2
	v_readfirstlane_b32 s10, v2
	v_readfirstlane_b32 s11, v3
	s_add_nc_u64 s[2:3], s[10:11], 1
	s_delay_alu instid0(SALU_CYCLE_1) | instskip(NEXT) | instid1(SALU_CYCLE_1)
	s_add_nc_u64 s[6:7], s[2:3], s[6:7]
	s_cmp_eq_u64 s[6:7], 0
	s_cselect_b32 s3, s3, s7
	s_cselect_b32 s2, s2, s6
	v_mov_b32_e32 v11, s3
	s_and_b64 s[6:7], s[2:3], s[10:11]
	v_mov_b32_e32 v10, s2
	s_mul_u64 s[6:7], s[6:7], 24
	s_wait_loadcnt 0x0
	v_add_nc_u64_e32 v[2:3], s[6:7], v[8:9]
	global_store_b64 v[2:3], v[12:13], off
	global_wb scope:SCOPE_SYS
	s_wait_storecnt 0x0
	s_wait_xcnt 0x0
	global_atomic_cmpswap_b64 v[10:11], v1, v[10:13], s[4:5] offset:24 th:TH_ATOMIC_RETURN scope:SCOPE_SYS
	s_wait_loadcnt 0x0
	v_cmp_ne_u64_e32 vcc_lo, v[10:11], v[12:13]
	s_and_b32 exec_lo, exec_lo, vcc_lo
	s_cbranch_execz .LBB6_604
; %bb.602:
	s_mov_b32 s6, 0
.LBB6_603:                              ; =>This Inner Loop Header: Depth=1
	v_dual_mov_b32 v8, s2 :: v_dual_mov_b32 v9, s3
	s_sleep 1
	global_store_b64 v[2:3], v[10:11], off
	global_wb scope:SCOPE_SYS
	s_wait_storecnt 0x0
	s_wait_xcnt 0x0
	global_atomic_cmpswap_b64 v[8:9], v1, v[8:11], s[4:5] offset:24 th:TH_ATOMIC_RETURN scope:SCOPE_SYS
	s_wait_loadcnt 0x0
	v_cmp_eq_u64_e32 vcc_lo, v[8:9], v[10:11]
	v_mov_b64_e32 v[10:11], v[8:9]
	s_or_b32 s6, vcc_lo, s6
	s_delay_alu instid0(SALU_CYCLE_1)
	s_and_not1_b32 exec_lo, exec_lo, s6
	s_cbranch_execnz .LBB6_603
.LBB6_604:
	s_or_b32 exec_lo, exec_lo, s8
	v_readfirstlane_b32 s2, v29
	v_mov_b64_e32 v[2:3], 0
	s_delay_alu instid0(VALU_DEP_2)
	v_cmp_eq_u32_e64 s2, s2, v29
	s_and_saveexec_b32 s3, s2
	s_cbranch_execz .LBB6_610
; %bb.605:
	v_mov_b32_e32 v1, 0
	s_mov_b32 s6, exec_lo
	global_load_b64 v[10:11], v1, s[4:5] offset:24 scope:SCOPE_SYS
	s_wait_loadcnt 0x0
	global_inv scope:SCOPE_SYS
	s_clause 0x1
	global_load_b64 v[2:3], v1, s[4:5] offset:40
	global_load_b64 v[8:9], v1, s[4:5]
	s_wait_loadcnt 0x1
	v_and_b32_e32 v2, v2, v10
	v_and_b32_e32 v3, v3, v11
	s_delay_alu instid0(VALU_DEP_1) | instskip(SKIP_1) | instid1(VALU_DEP_1)
	v_mul_u64_e32 v[2:3], 24, v[2:3]
	s_wait_loadcnt 0x0
	v_add_nc_u64_e32 v[2:3], v[8:9], v[2:3]
	global_load_b64 v[8:9], v[2:3], off scope:SCOPE_SYS
	s_wait_xcnt 0x0
	s_wait_loadcnt 0x0
	global_atomic_cmpswap_b64 v[2:3], v1, v[8:11], s[4:5] offset:24 th:TH_ATOMIC_RETURN scope:SCOPE_SYS
	s_wait_loadcnt 0x0
	global_inv scope:SCOPE_SYS
	s_wait_xcnt 0x0
	v_cmpx_ne_u64_e64 v[2:3], v[10:11]
	s_cbranch_execz .LBB6_609
; %bb.606:
	s_mov_b32 s7, 0
.LBB6_607:                              ; =>This Inner Loop Header: Depth=1
	s_sleep 1
	s_clause 0x1
	global_load_b64 v[8:9], v1, s[4:5] offset:40
	global_load_b64 v[12:13], v1, s[4:5]
	v_mov_b64_e32 v[10:11], v[2:3]
	s_wait_loadcnt 0x1
	s_delay_alu instid0(VALU_DEP_1) | instskip(NEXT) | instid1(VALU_DEP_2)
	v_and_b32_e32 v2, v8, v10
	v_and_b32_e32 v5, v9, v11
	s_wait_loadcnt 0x0
	s_delay_alu instid0(VALU_DEP_2) | instskip(NEXT) | instid1(VALU_DEP_1)
	v_mad_nc_u64_u32 v[2:3], v2, 24, v[12:13]
	v_mad_u32 v3, v5, 24, v3
	global_load_b64 v[8:9], v[2:3], off scope:SCOPE_SYS
	s_wait_xcnt 0x0
	s_wait_loadcnt 0x0
	global_atomic_cmpswap_b64 v[2:3], v1, v[8:11], s[4:5] offset:24 th:TH_ATOMIC_RETURN scope:SCOPE_SYS
	s_wait_loadcnt 0x0
	global_inv scope:SCOPE_SYS
	v_cmp_eq_u64_e32 vcc_lo, v[2:3], v[10:11]
	s_or_b32 s7, vcc_lo, s7
	s_wait_xcnt 0x0
	s_and_not1_b32 exec_lo, exec_lo, s7
	s_cbranch_execnz .LBB6_607
; %bb.608:
	s_or_b32 exec_lo, exec_lo, s7
.LBB6_609:
	s_delay_alu instid0(SALU_CYCLE_1)
	s_or_b32 exec_lo, exec_lo, s6
.LBB6_610:
	s_delay_alu instid0(SALU_CYCLE_1)
	s_or_b32 exec_lo, exec_lo, s3
	v_readfirstlane_b32 s6, v2
	v_mov_b32_e32 v1, 0
	v_readfirstlane_b32 s7, v3
	s_mov_b32 s3, exec_lo
	s_clause 0x1
	global_load_b64 v[8:9], v1, s[4:5] offset:40
	global_load_b128 v[10:13], v1, s[4:5]
	s_wait_loadcnt 0x1
	v_and_b32_e32 v8, s6, v8
	v_and_b32_e32 v9, s7, v9
	s_delay_alu instid0(VALU_DEP_1) | instskip(SKIP_1) | instid1(VALU_DEP_1)
	v_mul_u64_e32 v[2:3], 24, v[8:9]
	s_wait_loadcnt 0x0
	v_add_nc_u64_e32 v[2:3], v[10:11], v[2:3]
	s_wait_xcnt 0x0
	s_and_saveexec_b32 s8, s2
	s_cbranch_execz .LBB6_612
; %bb.611:
	v_mov_b64_e32 v[16:17], 0x100000002
	v_dual_mov_b32 v14, s3 :: v_dual_mov_b32 v15, v1
	global_store_b128 v[2:3], v[14:17], off offset:8
.LBB6_612:
	s_wait_xcnt 0x0
	s_or_b32 exec_lo, exec_lo, s8
	v_lshlrev_b64_e32 v[14:15], 12, v[8:9]
	s_mov_b32 s8, 0
	v_dual_mov_b32 v9, v1 :: v_dual_lshrrev_b32 v8, 5, v28
	s_mov_b32 s10, s8
	s_mov_b32 s11, s8
	;; [unrolled: 1-line block ×3, first 2 shown]
	s_delay_alu instid0(VALU_DEP_2) | instskip(SKIP_3) | instid1(VALU_DEP_4)
	v_add_nc_u64_e32 v[14:15], v[12:13], v[14:15]
	v_mov_b64_e32 v[18:19], s[10:11]
	v_mov_b64_e32 v[16:17], s[8:9]
	v_and_or_b32 v6, 0xffffff1f, v6, 32
	v_readfirstlane_b32 s12, v14
	v_readfirstlane_b32 s13, v15
	s_clause 0x3
	global_store_b128 v0, v[6:9], s[12:13]
	global_store_b128 v0, v[16:19], s[12:13] offset:16
	global_store_b128 v0, v[16:19], s[12:13] offset:32
	global_store_b128 v0, v[16:19], s[12:13] offset:48
	s_wait_xcnt 0x0
	s_and_saveexec_b32 s3, s2
	s_cbranch_execz .LBB6_620
; %bb.613:
	v_dual_mov_b32 v5, 0 :: v_dual_mov_b32 v17, s7
	s_mov_b32 s8, exec_lo
	s_clause 0x1
	global_load_b64 v[18:19], v5, s[4:5] offset:32 scope:SCOPE_SYS
	global_load_b64 v[6:7], v5, s[4:5] offset:40
	s_wait_loadcnt 0x0
	v_dual_mov_b32 v16, s6 :: v_dual_bitop2_b32 v7, s7, v7 bitop3:0x40
	v_and_b32_e32 v6, s6, v6
	s_delay_alu instid0(VALU_DEP_1) | instskip(NEXT) | instid1(VALU_DEP_1)
	v_mul_u64_e32 v[6:7], 24, v[6:7]
	v_add_nc_u64_e32 v[6:7], v[10:11], v[6:7]
	global_store_b64 v[6:7], v[18:19], off
	global_wb scope:SCOPE_SYS
	s_wait_storecnt 0x0
	s_wait_xcnt 0x0
	global_atomic_cmpswap_b64 v[12:13], v5, v[16:19], s[4:5] offset:32 th:TH_ATOMIC_RETURN scope:SCOPE_SYS
	s_wait_loadcnt 0x0
	v_cmpx_ne_u64_e64 v[12:13], v[18:19]
	s_cbranch_execz .LBB6_616
; %bb.614:
	s_mov_b32 s9, 0
.LBB6_615:                              ; =>This Inner Loop Header: Depth=1
	v_dual_mov_b32 v10, s6 :: v_dual_mov_b32 v11, s7
	s_sleep 1
	global_store_b64 v[6:7], v[12:13], off
	global_wb scope:SCOPE_SYS
	s_wait_storecnt 0x0
	s_wait_xcnt 0x0
	global_atomic_cmpswap_b64 v[10:11], v5, v[10:13], s[4:5] offset:32 th:TH_ATOMIC_RETURN scope:SCOPE_SYS
	s_wait_loadcnt 0x0
	v_cmp_eq_u64_e32 vcc_lo, v[10:11], v[12:13]
	v_mov_b64_e32 v[12:13], v[10:11]
	s_or_b32 s9, vcc_lo, s9
	s_delay_alu instid0(SALU_CYCLE_1)
	s_and_not1_b32 exec_lo, exec_lo, s9
	s_cbranch_execnz .LBB6_615
.LBB6_616:
	s_or_b32 exec_lo, exec_lo, s8
	v_mov_b32_e32 v11, 0
	s_mov_b32 s9, exec_lo
	s_mov_b32 s8, exec_lo
	v_mbcnt_lo_u32_b32 v5, s9, 0
	global_load_b64 v[6:7], v11, s[4:5] offset:16
	s_wait_xcnt 0x0
	v_cmpx_eq_u32_e32 0, v5
	s_cbranch_execz .LBB6_618
; %bb.617:
	s_bcnt1_i32_b32 s9, s9
	s_delay_alu instid0(SALU_CYCLE_1)
	v_mov_b32_e32 v10, s9
	global_wb scope:SCOPE_SYS
	s_wait_loadcnt 0x0
	s_wait_storecnt 0x0
	global_atomic_add_u64 v[6:7], v[10:11], off offset:8 scope:SCOPE_SYS
.LBB6_618:
	s_wait_xcnt 0x0
	s_or_b32 exec_lo, exec_lo, s8
	s_wait_loadcnt 0x0
	global_load_b64 v[10:11], v[6:7], off offset:16
	s_wait_loadcnt 0x0
	v_cmp_eq_u64_e32 vcc_lo, 0, v[10:11]
	s_cbranch_vccnz .LBB6_620
; %bb.619:
	global_load_b32 v6, v[6:7], off offset:24
	s_wait_xcnt 0x0
	v_mov_b32_e32 v7, 0
	s_wait_loadcnt 0x0
	v_readfirstlane_b32 s8, v6
	global_wb scope:SCOPE_SYS
	s_wait_storecnt 0x0
	global_store_b64 v[10:11], v[6:7], off scope:SCOPE_SYS
	s_and_b32 m0, s8, 0xffffff
	s_sendmsg sendmsg(MSG_INTERRUPT)
.LBB6_620:
	s_wait_xcnt 0x0
	s_or_b32 exec_lo, exec_lo, s3
	v_add_nc_u64_e32 v[6:7], v[14:15], v[0:1]
	s_branch .LBB6_624
.LBB6_621:                              ;   in Loop: Header=BB6_624 Depth=1
	s_wait_xcnt 0x0
	s_or_b32 exec_lo, exec_lo, s3
	s_delay_alu instid0(VALU_DEP_1)
	v_readfirstlane_b32 s3, v1
	s_cmp_eq_u32 s3, 0
	s_cbranch_scc1 .LBB6_623
; %bb.622:                              ;   in Loop: Header=BB6_624 Depth=1
	s_sleep 1
	s_cbranch_execnz .LBB6_624
	s_branch .LBB6_626
.LBB6_623:
	s_branch .LBB6_626
.LBB6_624:                              ; =>This Inner Loop Header: Depth=1
	v_mov_b32_e32 v1, 1
	s_and_saveexec_b32 s3, s2
	s_cbranch_execz .LBB6_621
; %bb.625:                              ;   in Loop: Header=BB6_624 Depth=1
	global_load_b32 v1, v[2:3], off offset:20 scope:SCOPE_SYS
	s_wait_loadcnt 0x0
	global_inv scope:SCOPE_SYS
	v_and_b32_e32 v1, 1, v1
	s_branch .LBB6_621
.LBB6_626:
	global_load_b64 v[10:11], v[6:7], off
	s_wait_xcnt 0x0
	s_and_saveexec_b32 s8, s2
	s_cbranch_execz .LBB6_630
; %bb.627:
	v_mov_b32_e32 v1, 0
	s_clause 0x2
	global_load_b64 v[2:3], v1, s[4:5] offset:40
	global_load_b64 v[16:17], v1, s[4:5] offset:24 scope:SCOPE_SYS
	global_load_b64 v[6:7], v1, s[4:5]
	s_wait_loadcnt 0x2
	v_readfirstlane_b32 s10, v2
	v_readfirstlane_b32 s11, v3
	s_add_nc_u64 s[2:3], s[10:11], 1
	s_delay_alu instid0(SALU_CYCLE_1) | instskip(NEXT) | instid1(SALU_CYCLE_1)
	s_add_nc_u64 s[6:7], s[2:3], s[6:7]
	s_cmp_eq_u64 s[6:7], 0
	s_cselect_b32 s3, s3, s7
	s_cselect_b32 s2, s2, s6
	v_mov_b32_e32 v15, s3
	s_and_b64 s[6:7], s[2:3], s[10:11]
	v_mov_b32_e32 v14, s2
	s_mul_u64 s[6:7], s[6:7], 24
	s_wait_loadcnt 0x0
	v_add_nc_u64_e32 v[2:3], s[6:7], v[6:7]
	global_store_b64 v[2:3], v[16:17], off
	global_wb scope:SCOPE_SYS
	s_wait_storecnt 0x0
	s_wait_xcnt 0x0
	global_atomic_cmpswap_b64 v[14:15], v1, v[14:17], s[4:5] offset:24 th:TH_ATOMIC_RETURN scope:SCOPE_SYS
	s_wait_loadcnt 0x0
	v_cmp_ne_u64_e32 vcc_lo, v[14:15], v[16:17]
	s_and_b32 exec_lo, exec_lo, vcc_lo
	s_cbranch_execz .LBB6_630
; %bb.628:
	s_mov_b32 s6, 0
.LBB6_629:                              ; =>This Inner Loop Header: Depth=1
	v_dual_mov_b32 v12, s2 :: v_dual_mov_b32 v13, s3
	s_sleep 1
	global_store_b64 v[2:3], v[14:15], off
	global_wb scope:SCOPE_SYS
	s_wait_storecnt 0x0
	s_wait_xcnt 0x0
	global_atomic_cmpswap_b64 v[6:7], v1, v[12:15], s[4:5] offset:24 th:TH_ATOMIC_RETURN scope:SCOPE_SYS
	s_wait_loadcnt 0x0
	v_cmp_eq_u64_e32 vcc_lo, v[6:7], v[14:15]
	v_mov_b64_e32 v[14:15], v[6:7]
	s_or_b32 s6, vcc_lo, s6
	s_delay_alu instid0(SALU_CYCLE_1)
	s_and_not1_b32 exec_lo, exec_lo, s6
	s_cbranch_execnz .LBB6_629
.LBB6_630:
	s_or_b32 exec_lo, exec_lo, s8
	v_readfirstlane_b32 s2, v29
	v_mov_b64_e32 v[2:3], 0
	s_delay_alu instid0(VALU_DEP_2)
	v_cmp_eq_u32_e64 s2, s2, v29
	s_and_saveexec_b32 s3, s2
	s_cbranch_execz .LBB6_636
; %bb.631:
	v_mov_b32_e32 v1, 0
	s_mov_b32 s6, exec_lo
	global_load_b64 v[14:15], v1, s[4:5] offset:24 scope:SCOPE_SYS
	s_wait_loadcnt 0x0
	global_inv scope:SCOPE_SYS
	s_clause 0x1
	global_load_b64 v[2:3], v1, s[4:5] offset:40
	global_load_b64 v[6:7], v1, s[4:5]
	s_wait_loadcnt 0x1
	v_and_b32_e32 v2, v2, v14
	v_and_b32_e32 v3, v3, v15
	s_delay_alu instid0(VALU_DEP_1) | instskip(SKIP_1) | instid1(VALU_DEP_1)
	v_mul_u64_e32 v[2:3], 24, v[2:3]
	s_wait_loadcnt 0x0
	v_add_nc_u64_e32 v[2:3], v[6:7], v[2:3]
	global_load_b64 v[12:13], v[2:3], off scope:SCOPE_SYS
	s_wait_xcnt 0x0
	s_wait_loadcnt 0x0
	global_atomic_cmpswap_b64 v[2:3], v1, v[12:15], s[4:5] offset:24 th:TH_ATOMIC_RETURN scope:SCOPE_SYS
	s_wait_loadcnt 0x0
	global_inv scope:SCOPE_SYS
	s_wait_xcnt 0x0
	v_cmpx_ne_u64_e64 v[2:3], v[14:15]
	s_cbranch_execz .LBB6_635
; %bb.632:
	s_mov_b32 s7, 0
.LBB6_633:                              ; =>This Inner Loop Header: Depth=1
	s_sleep 1
	s_clause 0x1
	global_load_b64 v[6:7], v1, s[4:5] offset:40
	global_load_b64 v[12:13], v1, s[4:5]
	v_mov_b64_e32 v[14:15], v[2:3]
	s_wait_loadcnt 0x1
	s_delay_alu instid0(VALU_DEP_1) | instskip(NEXT) | instid1(VALU_DEP_2)
	v_and_b32_e32 v2, v6, v14
	v_and_b32_e32 v5, v7, v15
	s_wait_loadcnt 0x0
	s_delay_alu instid0(VALU_DEP_2) | instskip(NEXT) | instid1(VALU_DEP_1)
	v_mad_nc_u64_u32 v[2:3], v2, 24, v[12:13]
	v_mad_u32 v3, v5, 24, v3
	global_load_b64 v[12:13], v[2:3], off scope:SCOPE_SYS
	s_wait_xcnt 0x0
	s_wait_loadcnt 0x0
	global_atomic_cmpswap_b64 v[2:3], v1, v[12:15], s[4:5] offset:24 th:TH_ATOMIC_RETURN scope:SCOPE_SYS
	s_wait_loadcnt 0x0
	global_inv scope:SCOPE_SYS
	v_cmp_eq_u64_e32 vcc_lo, v[2:3], v[14:15]
	s_or_b32 s7, vcc_lo, s7
	s_wait_xcnt 0x0
	s_and_not1_b32 exec_lo, exec_lo, s7
	s_cbranch_execnz .LBB6_633
; %bb.634:
	s_or_b32 exec_lo, exec_lo, s7
.LBB6_635:
	s_delay_alu instid0(SALU_CYCLE_1)
	s_or_b32 exec_lo, exec_lo, s6
.LBB6_636:
	s_delay_alu instid0(SALU_CYCLE_1)
	s_or_b32 exec_lo, exec_lo, s3
	v_readfirstlane_b32 s6, v2
	v_mov_b32_e32 v13, 0
	v_readfirstlane_b32 s7, v3
	s_mov_b32 s3, exec_lo
	s_clause 0x1
	global_load_b64 v[6:7], v13, s[4:5] offset:40
	global_load_b128 v[14:17], v13, s[4:5]
	s_wait_loadcnt 0x1
	v_and_b32_e32 v2, s6, v6
	v_and_b32_e32 v3, s7, v7
	s_delay_alu instid0(VALU_DEP_1) | instskip(SKIP_1) | instid1(VALU_DEP_1)
	v_mul_u64_e32 v[6:7], 24, v[2:3]
	s_wait_loadcnt 0x0
	v_add_nc_u64_e32 v[6:7], v[14:15], v[6:7]
	s_wait_xcnt 0x0
	s_and_saveexec_b32 s8, s2
	s_cbranch_execz .LBB6_638
; %bb.637:
	v_mov_b32_e32 v12, s3
	v_mov_b64_e32 v[20:21], 0x100000002
	s_delay_alu instid0(VALU_DEP_2)
	v_mov_b64_e32 v[18:19], v[12:13]
	global_store_b128 v[6:7], v[18:21], off offset:8
.LBB6_638:
	s_wait_xcnt 0x0
	s_or_b32 exec_lo, exec_lo, s8
	v_lshlrev_b64_e32 v[2:3], 12, v[2:3]
	s_mov_b32 s8, 0
	s_add_co_i32 s22, s22, 31
	s_mov_b32 s10, s8
	s_mov_b32 s11, s8
	;; [unrolled: 1-line block ×3, first 2 shown]
	s_lshr_b32 s3, s22, 5
	v_add_nc_u64_e32 v[2:3], v[16:17], v[2:3]
	v_mov_b64_e32 v[18:19], s[10:11]
	v_mov_b64_e32 v[16:17], s[8:9]
	v_and_or_b32 v10, 0xffffff1d, v10, 34
	v_mov_b32_e32 v12, s3
	v_readfirstlane_b32 s12, v2
	v_readfirstlane_b32 s13, v3
	s_clause 0x3
	global_store_b128 v0, v[10:13], s[12:13]
	global_store_b128 v0, v[16:19], s[12:13] offset:16
	global_store_b128 v0, v[16:19], s[12:13] offset:32
	;; [unrolled: 1-line block ×3, first 2 shown]
	s_wait_xcnt 0x0
	s_and_saveexec_b32 s3, s2
	s_cbranch_execz .LBB6_646
; %bb.639:
	v_mov_b32_e32 v5, 0
	s_mov_b32 s8, exec_lo
	s_clause 0x1
	global_load_b64 v[16:17], v5, s[4:5] offset:32 scope:SCOPE_SYS
	global_load_b64 v[0:1], v5, s[4:5] offset:40
	s_wait_loadcnt 0x0
	v_and_b32_e32 v0, s6, v0
	v_and_b32_e32 v1, s7, v1
	s_delay_alu instid0(VALU_DEP_1) | instskip(NEXT) | instid1(VALU_DEP_1)
	v_mul_u64_e32 v[0:1], 24, v[0:1]
	v_add_nc_u64_e32 v[10:11], v[14:15], v[0:1]
	v_dual_mov_b32 v14, s6 :: v_dual_mov_b32 v15, s7
	global_store_b64 v[10:11], v[16:17], off
	global_wb scope:SCOPE_SYS
	s_wait_storecnt 0x0
	s_wait_xcnt 0x0
	global_atomic_cmpswap_b64 v[2:3], v5, v[14:17], s[4:5] offset:32 th:TH_ATOMIC_RETURN scope:SCOPE_SYS
	s_wait_loadcnt 0x0
	v_cmpx_ne_u64_e64 v[2:3], v[16:17]
	s_cbranch_execz .LBB6_642
; %bb.640:
	s_mov_b32 s9, 0
.LBB6_641:                              ; =>This Inner Loop Header: Depth=1
	v_dual_mov_b32 v0, s6 :: v_dual_mov_b32 v1, s7
	s_sleep 1
	global_store_b64 v[10:11], v[2:3], off
	global_wb scope:SCOPE_SYS
	s_wait_storecnt 0x0
	s_wait_xcnt 0x0
	global_atomic_cmpswap_b64 v[0:1], v5, v[0:3], s[4:5] offset:32 th:TH_ATOMIC_RETURN scope:SCOPE_SYS
	s_wait_loadcnt 0x0
	v_cmp_eq_u64_e32 vcc_lo, v[0:1], v[2:3]
	v_mov_b64_e32 v[2:3], v[0:1]
	s_or_b32 s9, vcc_lo, s9
	s_delay_alu instid0(SALU_CYCLE_1)
	s_and_not1_b32 exec_lo, exec_lo, s9
	s_cbranch_execnz .LBB6_641
.LBB6_642:
	s_or_b32 exec_lo, exec_lo, s8
	v_mov_b32_e32 v3, 0
	s_mov_b32 s9, exec_lo
	s_mov_b32 s8, exec_lo
	v_mbcnt_lo_u32_b32 v2, s9, 0
	global_load_b64 v[0:1], v3, s[4:5] offset:16
	s_wait_xcnt 0x0
	v_cmpx_eq_u32_e32 0, v2
	s_cbranch_execz .LBB6_644
; %bb.643:
	s_bcnt1_i32_b32 s9, s9
	s_delay_alu instid0(SALU_CYCLE_1)
	v_mov_b32_e32 v2, s9
	global_wb scope:SCOPE_SYS
	s_wait_loadcnt 0x0
	s_wait_storecnt 0x0
	global_atomic_add_u64 v[0:1], v[2:3], off offset:8 scope:SCOPE_SYS
.LBB6_644:
	s_wait_xcnt 0x0
	s_or_b32 exec_lo, exec_lo, s8
	s_wait_loadcnt 0x0
	global_load_b64 v[2:3], v[0:1], off offset:16
	s_wait_loadcnt 0x0
	v_cmp_eq_u64_e32 vcc_lo, 0, v[2:3]
	s_cbranch_vccnz .LBB6_646
; %bb.645:
	global_load_b32 v0, v[0:1], off offset:24
	s_wait_xcnt 0x0
	v_mov_b32_e32 v1, 0
	s_wait_loadcnt 0x0
	v_readfirstlane_b32 s8, v0
	global_wb scope:SCOPE_SYS
	s_wait_storecnt 0x0
	global_store_b64 v[2:3], v[0:1], off scope:SCOPE_SYS
	s_and_b32 m0, s8, 0xffffff
	s_sendmsg sendmsg(MSG_INTERRUPT)
.LBB6_646:
	s_wait_xcnt 0x0
	s_or_b32 exec_lo, exec_lo, s3
	s_branch .LBB6_650
.LBB6_647:                              ;   in Loop: Header=BB6_650 Depth=1
	s_wait_xcnt 0x0
	s_or_b32 exec_lo, exec_lo, s3
	s_delay_alu instid0(VALU_DEP_1)
	v_readfirstlane_b32 s3, v0
	s_cmp_eq_u32 s3, 0
	s_cbranch_scc1 .LBB6_649
; %bb.648:                              ;   in Loop: Header=BB6_650 Depth=1
	s_sleep 1
	s_cbranch_execnz .LBB6_650
	s_branch .LBB6_652
.LBB6_649:
	s_branch .LBB6_652
.LBB6_650:                              ; =>This Inner Loop Header: Depth=1
	v_mov_b32_e32 v0, 1
	s_and_saveexec_b32 s3, s2
	s_cbranch_execz .LBB6_647
; %bb.651:                              ;   in Loop: Header=BB6_650 Depth=1
	global_load_b32 v0, v[6:7], off offset:20 scope:SCOPE_SYS
	s_wait_loadcnt 0x0
	global_inv scope:SCOPE_SYS
	v_and_b32_e32 v0, 1, v0
	s_branch .LBB6_647
.LBB6_652:
	s_and_saveexec_b32 s8, s2
	s_cbranch_execz .LBB6_656
; %bb.653:
	v_mov_b32_e32 v5, 0
	s_clause 0x2
	global_load_b64 v[0:1], v5, s[4:5] offset:40
	global_load_b64 v[12:13], v5, s[4:5] offset:24 scope:SCOPE_SYS
	global_load_b64 v[2:3], v5, s[4:5]
	s_wait_loadcnt 0x2
	v_readfirstlane_b32 s10, v0
	v_readfirstlane_b32 s11, v1
	s_add_nc_u64 s[2:3], s[10:11], 1
	s_delay_alu instid0(SALU_CYCLE_1) | instskip(NEXT) | instid1(SALU_CYCLE_1)
	s_add_nc_u64 s[6:7], s[2:3], s[6:7]
	s_cmp_eq_u64 s[6:7], 0
	s_cselect_b32 s3, s3, s7
	s_cselect_b32 s2, s2, s6
	v_mov_b32_e32 v11, s3
	s_and_b64 s[6:7], s[2:3], s[10:11]
	v_mov_b32_e32 v10, s2
	s_mul_u64 s[6:7], s[6:7], 24
	s_wait_loadcnt 0x0
	v_add_nc_u64_e32 v[6:7], s[6:7], v[2:3]
	global_store_b64 v[6:7], v[12:13], off
	global_wb scope:SCOPE_SYS
	s_wait_storecnt 0x0
	s_wait_xcnt 0x0
	global_atomic_cmpswap_b64 v[2:3], v5, v[10:13], s[4:5] offset:24 th:TH_ATOMIC_RETURN scope:SCOPE_SYS
	s_wait_loadcnt 0x0
	v_cmp_ne_u64_e32 vcc_lo, v[2:3], v[12:13]
	s_and_b32 exec_lo, exec_lo, vcc_lo
	s_cbranch_execz .LBB6_656
; %bb.654:
	s_mov_b32 s6, 0
.LBB6_655:                              ; =>This Inner Loop Header: Depth=1
	v_dual_mov_b32 v0, s2 :: v_dual_mov_b32 v1, s3
	s_sleep 1
	global_store_b64 v[6:7], v[2:3], off
	global_wb scope:SCOPE_SYS
	s_wait_storecnt 0x0
	s_wait_xcnt 0x0
	global_atomic_cmpswap_b64 v[0:1], v5, v[0:3], s[4:5] offset:24 th:TH_ATOMIC_RETURN scope:SCOPE_SYS
	s_wait_loadcnt 0x0
	v_cmp_eq_u64_e32 vcc_lo, v[0:1], v[2:3]
	v_mov_b64_e32 v[2:3], v[0:1]
	s_or_b32 s6, vcc_lo, s6
	s_delay_alu instid0(SALU_CYCLE_1)
	s_and_not1_b32 exec_lo, exec_lo, s6
	s_cbranch_execnz .LBB6_655
.LBB6_656:
	s_or_b32 exec_lo, exec_lo, s8
	s_load_b64 s[0:1], s[0:1], 0x0
	s_wait_kmcnt 0x0
	global_store_b32 v8, v4, s[0:1] scale_offset
	s_endpgm
	.section	.rodata,"a",@progbits
	.p2align	6, 0x0
	.amdhsa_kernel _Z32kernel_cg_group_partition_staticILj32EEvPibS0_
		.amdhsa_group_segment_fixed_size 0
		.amdhsa_private_segment_fixed_size 0
		.amdhsa_kernarg_size 280
		.amdhsa_user_sgpr_count 2
		.amdhsa_user_sgpr_dispatch_ptr 0
		.amdhsa_user_sgpr_queue_ptr 0
		.amdhsa_user_sgpr_kernarg_segment_ptr 1
		.amdhsa_user_sgpr_dispatch_id 0
		.amdhsa_user_sgpr_kernarg_preload_length 0
		.amdhsa_user_sgpr_kernarg_preload_offset 0
		.amdhsa_user_sgpr_private_segment_size 0
		.amdhsa_wavefront_size32 1
		.amdhsa_uses_dynamic_stack 0
		.amdhsa_enable_private_segment 0
		.amdhsa_system_sgpr_workgroup_id_x 1
		.amdhsa_system_sgpr_workgroup_id_y 0
		.amdhsa_system_sgpr_workgroup_id_z 0
		.amdhsa_system_sgpr_workgroup_info 0
		.amdhsa_system_vgpr_workitem_id 2
		.amdhsa_next_free_vgpr 36
		.amdhsa_next_free_sgpr 28
		.amdhsa_named_barrier_count 0
		.amdhsa_reserve_vcc 1
		.amdhsa_float_round_mode_32 0
		.amdhsa_float_round_mode_16_64 0
		.amdhsa_float_denorm_mode_32 3
		.amdhsa_float_denorm_mode_16_64 3
		.amdhsa_fp16_overflow 0
		.amdhsa_memory_ordered 1
		.amdhsa_forward_progress 1
		.amdhsa_inst_pref_size 233
		.amdhsa_round_robin_scheduling 0
		.amdhsa_exception_fp_ieee_invalid_op 0
		.amdhsa_exception_fp_denorm_src 0
		.amdhsa_exception_fp_ieee_div_zero 0
		.amdhsa_exception_fp_ieee_overflow 0
		.amdhsa_exception_fp_ieee_underflow 0
		.amdhsa_exception_fp_ieee_inexact 0
		.amdhsa_exception_int_div_zero 0
	.end_amdhsa_kernel
	.section	.text._Z32kernel_cg_group_partition_staticILj32EEvPibS0_,"axG",@progbits,_Z32kernel_cg_group_partition_staticILj32EEvPibS0_,comdat
.Lfunc_end6:
	.size	_Z32kernel_cg_group_partition_staticILj32EEvPibS0_, .Lfunc_end6-_Z32kernel_cg_group_partition_staticILj32EEvPibS0_
                                        ; -- End function
	.set _Z32kernel_cg_group_partition_staticILj32EEvPibS0_.num_vgpr, 36
	.set _Z32kernel_cg_group_partition_staticILj32EEvPibS0_.num_agpr, 0
	.set _Z32kernel_cg_group_partition_staticILj32EEvPibS0_.numbered_sgpr, 28
	.set _Z32kernel_cg_group_partition_staticILj32EEvPibS0_.num_named_barrier, 0
	.set _Z32kernel_cg_group_partition_staticILj32EEvPibS0_.private_seg_size, 0
	.set _Z32kernel_cg_group_partition_staticILj32EEvPibS0_.uses_vcc, 1
	.set _Z32kernel_cg_group_partition_staticILj32EEvPibS0_.uses_flat_scratch, 0
	.set _Z32kernel_cg_group_partition_staticILj32EEvPibS0_.has_dyn_sized_stack, 0
	.set _Z32kernel_cg_group_partition_staticILj32EEvPibS0_.has_recursion, 0
	.set _Z32kernel_cg_group_partition_staticILj32EEvPibS0_.has_indirect_call, 0
	.section	.AMDGPU.csdata,"",@progbits
; Kernel info:
; codeLenInByte = 29824
; TotalNumSgprs: 30
; NumVgprs: 36
; ScratchSize: 0
; MemoryBound: 0
; FloatMode: 240
; IeeeMode: 1
; LDSByteSize: 0 bytes/workgroup (compile time only)
; SGPRBlocks: 0
; VGPRBlocks: 2
; NumSGPRsForWavesPerEU: 30
; NumVGPRsForWavesPerEU: 36
; NamedBarCnt: 0
; Occupancy: 16
; WaveLimiterHint : 1
; COMPUTE_PGM_RSRC2:SCRATCH_EN: 0
; COMPUTE_PGM_RSRC2:USER_SGPR: 2
; COMPUTE_PGM_RSRC2:TRAP_HANDLER: 0
; COMPUTE_PGM_RSRC2:TGID_X_EN: 1
; COMPUTE_PGM_RSRC2:TGID_Y_EN: 0
; COMPUTE_PGM_RSRC2:TGID_Z_EN: 0
; COMPUTE_PGM_RSRC2:TIDIG_COMP_CNT: 2
	.text
	.p2alignl 7, 3214868480
	.fill 96, 4, 3214868480
	.section	.AMDGPU.gpr_maximums,"",@progbits
	.set amdgpu.max_num_vgpr, 0
	.set amdgpu.max_num_agpr, 0
	.set amdgpu.max_num_sgpr, 0
	.text
	.type	.str,@object                    ; @.str
	.section	.rodata.str1.1,"aMS",@progbits,1
.str:
	.asciz	"\n\n\n Sum of all ranks 0..%d in threadBlockCooperativeGroup is %d\n\n"
	.size	.str, 66

	.type	.str.1,@object                  ; @.str.1
.str.1:
	.asciz	" Creating %d groups, of tile size %d threads:\n\n"
	.size	.str.1, 48

	.type	.str.2,@object                  ; @.str.2
.str.2:
	.asciz	"   Sum of all ranks 0..%d in this tiledPartition group is %d. Corresponding parent thread rank: %d\n"
	.size	.str.2, 100

	.type	.str.3,@object                  ; @.str.3
.str.3:
	.asciz	"Outer tile %d (size=%u), inner subtile %d (size=%u) subtotal = %d\n"
	.size	.str.3, 67

	.type	.str.8,@object                  ; @.str.8
.str.8:
	.asciz	" Sum of all ranks 0..%d in threadBlockCooperativeGroup is %d (expected %d)\n\n"
	.size	.str.8, 77

	.type	.str.9,@object                  ; @.str.9
.str.9:
	.asciz	"   Sum of all ranks 0..%d in this tiledPartition group is %d. Corresponding parent thread rank: via meta_group_rank : %d and the total number of groups created when partitioned : %d\n"
	.size	.str.9, 183

	.type	__hip_cuid_af1fe10b82967a7,@object ; @__hip_cuid_af1fe10b82967a7
	.section	.bss,"aw",@nobits
	.globl	__hip_cuid_af1fe10b82967a7
__hip_cuid_af1fe10b82967a7:
	.byte	0                               ; 0x0
	.size	__hip_cuid_af1fe10b82967a7, 1

	.ident	"AMD clang version 22.0.0git (https://github.com/RadeonOpenCompute/llvm-project roc-7.2.4 26084 f58b06dce1f9c15707c5f808fd002e18c2accf7e)"
	.section	".note.GNU-stack","",@progbits
	.addrsig
	.addrsig_sym __hip_cuid_af1fe10b82967a7
	.amdgpu_metadata
---
amdhsa.kernels:
  - .args:
      - .offset:         0
        .size:           4
        .value_kind:     by_value
      - .address_space:  global
        .offset:         8
        .size:           8
        .value_kind:     global_buffer
      - .offset:         16
        .size:           1
        .value_kind:     by_value
      - .address_space:  global
        .offset:         24
        .size:           8
        .value_kind:     global_buffer
      - .offset:         32
        .size:           4
        .value_kind:     hidden_block_count_x
      - .offset:         36
        .size:           4
        .value_kind:     hidden_block_count_y
      - .offset:         40
        .size:           4
        .value_kind:     hidden_block_count_z
      - .offset:         44
        .size:           2
        .value_kind:     hidden_group_size_x
      - .offset:         46
        .size:           2
        .value_kind:     hidden_group_size_y
      - .offset:         48
        .size:           2
        .value_kind:     hidden_group_size_z
      - .offset:         50
        .size:           2
        .value_kind:     hidden_remainder_x
      - .offset:         52
        .size:           2
        .value_kind:     hidden_remainder_y
      - .offset:         54
        .size:           2
        .value_kind:     hidden_remainder_z
      - .offset:         72
        .size:           8
        .value_kind:     hidden_global_offset_x
      - .offset:         80
        .size:           8
        .value_kind:     hidden_global_offset_y
      - .offset:         88
        .size:           8
        .value_kind:     hidden_global_offset_z
      - .offset:         96
        .size:           2
        .value_kind:     hidden_grid_dims
      - .offset:         112
        .size:           8
        .value_kind:     hidden_hostcall_buffer
      - .offset:         152
        .size:           4
        .value_kind:     hidden_dynamic_lds_size
    .group_segment_fixed_size: 0
    .kernarg_segment_align: 8
    .kernarg_segment_size: 288
    .language:       OpenCL C
    .language_version:
      - 2
      - 0
    .max_flat_workgroup_size: 1024
    .name:           _Z33kernel_cg_group_partition_dynamicjPibS_
    .private_segment_fixed_size: 0
    .sgpr_count:     30
    .sgpr_spill_count: 0
    .symbol:         _Z33kernel_cg_group_partition_dynamicjPibS_.kd
    .uniform_work_group_size: 1
    .uses_dynamic_stack: false
    .vgpr_count:     40
    .vgpr_spill_count: 0
    .wavefront_size: 32
  - .args:
      - .offset:         0
        .size:           4
        .value_kind:     by_value
      - .offset:         4
        .size:           4
        .value_kind:     by_value
      - .address_space:  global
        .offset:         8
        .size:           8
        .value_kind:     global_buffer
      - .offset:         16
        .size:           1
        .value_kind:     by_value
      - .address_space:  global
        .offset:         24
        .size:           8
        .value_kind:     global_buffer
      - .offset:         32
        .size:           4
        .value_kind:     hidden_block_count_x
      - .offset:         36
        .size:           4
        .value_kind:     hidden_block_count_y
      - .offset:         40
        .size:           4
        .value_kind:     hidden_block_count_z
      - .offset:         44
        .size:           2
        .value_kind:     hidden_group_size_x
      - .offset:         46
        .size:           2
        .value_kind:     hidden_group_size_y
      - .offset:         48
        .size:           2
        .value_kind:     hidden_group_size_z
      - .offset:         50
        .size:           2
        .value_kind:     hidden_remainder_x
      - .offset:         52
        .size:           2
        .value_kind:     hidden_remainder_y
      - .offset:         54
        .size:           2
        .value_kind:     hidden_remainder_z
      - .offset:         72
        .size:           8
        .value_kind:     hidden_global_offset_x
      - .offset:         80
        .size:           8
        .value_kind:     hidden_global_offset_y
      - .offset:         88
        .size:           8
        .value_kind:     hidden_global_offset_z
      - .offset:         96
        .size:           2
        .value_kind:     hidden_grid_dims
      - .offset:         112
        .size:           8
        .value_kind:     hidden_hostcall_buffer
      - .offset:         152
        .size:           4
        .value_kind:     hidden_dynamic_lds_size
    .group_segment_fixed_size: 0
    .kernarg_segment_align: 8
    .kernarg_segment_size: 288
    .language:       OpenCL C
    .language_version:
      - 2
      - 0
    .max_flat_workgroup_size: 1024
    .name:           _Z32kernel_cg_group_partition_nestedjjPibS_
    .private_segment_fixed_size: 0
    .sgpr_count:     26
    .sgpr_spill_count: 0
    .symbol:         _Z32kernel_cg_group_partition_nestedjjPibS_.kd
    .uniform_work_group_size: 1
    .uses_dynamic_stack: false
    .vgpr_count:     38
    .vgpr_spill_count: 0
    .wavefront_size: 32
  - .args:
      - .address_space:  global
        .offset:         0
        .size:           8
        .value_kind:     global_buffer
      - .offset:         8
        .size:           1
        .value_kind:     by_value
      - .address_space:  global
        .offset:         16
        .size:           8
        .value_kind:     global_buffer
      - .offset:         24
        .size:           4
        .value_kind:     hidden_block_count_x
      - .offset:         28
        .size:           4
        .value_kind:     hidden_block_count_y
      - .offset:         32
        .size:           4
        .value_kind:     hidden_block_count_z
      - .offset:         36
        .size:           2
        .value_kind:     hidden_group_size_x
      - .offset:         38
        .size:           2
        .value_kind:     hidden_group_size_y
      - .offset:         40
        .size:           2
        .value_kind:     hidden_group_size_z
      - .offset:         42
        .size:           2
        .value_kind:     hidden_remainder_x
      - .offset:         44
        .size:           2
        .value_kind:     hidden_remainder_y
      - .offset:         46
        .size:           2
        .value_kind:     hidden_remainder_z
      - .offset:         64
        .size:           8
        .value_kind:     hidden_global_offset_x
      - .offset:         72
        .size:           8
        .value_kind:     hidden_global_offset_y
      - .offset:         80
        .size:           8
        .value_kind:     hidden_global_offset_z
      - .offset:         88
        .size:           2
        .value_kind:     hidden_grid_dims
      - .offset:         104
        .size:           8
        .value_kind:     hidden_hostcall_buffer
      - .offset:         144
        .size:           4
        .value_kind:     hidden_dynamic_lds_size
    .group_segment_fixed_size: 0
    .kernarg_segment_align: 8
    .kernarg_segment_size: 280
    .language:       OpenCL C
    .language_version:
      - 2
      - 0
    .max_flat_workgroup_size: 1024
    .name:           _Z32kernel_cg_group_partition_staticILj2EEvPibS0_
    .private_segment_fixed_size: 0
    .sgpr_count:     30
    .sgpr_spill_count: 0
    .symbol:         _Z32kernel_cg_group_partition_staticILj2EEvPibS0_.kd
    .uniform_work_group_size: 1
    .uses_dynamic_stack: false
    .vgpr_count:     38
    .vgpr_spill_count: 0
    .wavefront_size: 32
  - .args:
      - .address_space:  global
        .offset:         0
        .size:           8
        .value_kind:     global_buffer
      - .offset:         8
        .size:           1
        .value_kind:     by_value
      - .address_space:  global
        .offset:         16
        .size:           8
        .value_kind:     global_buffer
      - .offset:         24
        .size:           4
        .value_kind:     hidden_block_count_x
      - .offset:         28
        .size:           4
        .value_kind:     hidden_block_count_y
      - .offset:         32
        .size:           4
        .value_kind:     hidden_block_count_z
      - .offset:         36
        .size:           2
        .value_kind:     hidden_group_size_x
      - .offset:         38
        .size:           2
        .value_kind:     hidden_group_size_y
      - .offset:         40
        .size:           2
        .value_kind:     hidden_group_size_z
      - .offset:         42
        .size:           2
        .value_kind:     hidden_remainder_x
      - .offset:         44
        .size:           2
        .value_kind:     hidden_remainder_y
      - .offset:         46
        .size:           2
        .value_kind:     hidden_remainder_z
      - .offset:         64
        .size:           8
        .value_kind:     hidden_global_offset_x
      - .offset:         72
        .size:           8
        .value_kind:     hidden_global_offset_y
      - .offset:         80
        .size:           8
        .value_kind:     hidden_global_offset_z
      - .offset:         88
        .size:           2
        .value_kind:     hidden_grid_dims
      - .offset:         104
        .size:           8
        .value_kind:     hidden_hostcall_buffer
      - .offset:         144
        .size:           4
        .value_kind:     hidden_dynamic_lds_size
    .group_segment_fixed_size: 0
    .kernarg_segment_align: 8
    .kernarg_segment_size: 280
    .language:       OpenCL C
    .language_version:
      - 2
      - 0
    .max_flat_workgroup_size: 1024
    .name:           _Z32kernel_cg_group_partition_staticILj4EEvPibS0_
    .private_segment_fixed_size: 0
    .sgpr_count:     30
    .sgpr_spill_count: 0
    .symbol:         _Z32kernel_cg_group_partition_staticILj4EEvPibS0_.kd
    .uniform_work_group_size: 1
    .uses_dynamic_stack: false
    .vgpr_count:     36
    .vgpr_spill_count: 0
    .wavefront_size: 32
  - .args:
      - .address_space:  global
        .offset:         0
        .size:           8
        .value_kind:     global_buffer
      - .offset:         8
        .size:           1
        .value_kind:     by_value
      - .address_space:  global
        .offset:         16
        .size:           8
        .value_kind:     global_buffer
      - .offset:         24
        .size:           4
        .value_kind:     hidden_block_count_x
      - .offset:         28
        .size:           4
        .value_kind:     hidden_block_count_y
      - .offset:         32
        .size:           4
        .value_kind:     hidden_block_count_z
      - .offset:         36
        .size:           2
        .value_kind:     hidden_group_size_x
      - .offset:         38
        .size:           2
        .value_kind:     hidden_group_size_y
      - .offset:         40
        .size:           2
        .value_kind:     hidden_group_size_z
      - .offset:         42
        .size:           2
        .value_kind:     hidden_remainder_x
      - .offset:         44
        .size:           2
        .value_kind:     hidden_remainder_y
      - .offset:         46
        .size:           2
        .value_kind:     hidden_remainder_z
      - .offset:         64
        .size:           8
        .value_kind:     hidden_global_offset_x
      - .offset:         72
        .size:           8
        .value_kind:     hidden_global_offset_y
      - .offset:         80
        .size:           8
        .value_kind:     hidden_global_offset_z
      - .offset:         88
        .size:           2
        .value_kind:     hidden_grid_dims
      - .offset:         104
        .size:           8
        .value_kind:     hidden_hostcall_buffer
      - .offset:         144
        .size:           4
        .value_kind:     hidden_dynamic_lds_size
    .group_segment_fixed_size: 0
    .kernarg_segment_align: 8
    .kernarg_segment_size: 280
    .language:       OpenCL C
    .language_version:
      - 2
      - 0
    .max_flat_workgroup_size: 1024
    .name:           _Z32kernel_cg_group_partition_staticILj8EEvPibS0_
    .private_segment_fixed_size: 0
    .sgpr_count:     30
    .sgpr_spill_count: 0
    .symbol:         _Z32kernel_cg_group_partition_staticILj8EEvPibS0_.kd
    .uniform_work_group_size: 1
    .uses_dynamic_stack: false
    .vgpr_count:     36
    .vgpr_spill_count: 0
    .wavefront_size: 32
  - .args:
      - .address_space:  global
        .offset:         0
        .size:           8
        .value_kind:     global_buffer
      - .offset:         8
        .size:           1
        .value_kind:     by_value
      - .address_space:  global
        .offset:         16
        .size:           8
        .value_kind:     global_buffer
      - .offset:         24
        .size:           4
        .value_kind:     hidden_block_count_x
      - .offset:         28
        .size:           4
        .value_kind:     hidden_block_count_y
      - .offset:         32
        .size:           4
        .value_kind:     hidden_block_count_z
      - .offset:         36
        .size:           2
        .value_kind:     hidden_group_size_x
      - .offset:         38
        .size:           2
        .value_kind:     hidden_group_size_y
      - .offset:         40
        .size:           2
        .value_kind:     hidden_group_size_z
      - .offset:         42
        .size:           2
        .value_kind:     hidden_remainder_x
      - .offset:         44
        .size:           2
        .value_kind:     hidden_remainder_y
      - .offset:         46
        .size:           2
        .value_kind:     hidden_remainder_z
      - .offset:         64
        .size:           8
        .value_kind:     hidden_global_offset_x
      - .offset:         72
        .size:           8
        .value_kind:     hidden_global_offset_y
      - .offset:         80
        .size:           8
        .value_kind:     hidden_global_offset_z
      - .offset:         88
        .size:           2
        .value_kind:     hidden_grid_dims
      - .offset:         104
        .size:           8
        .value_kind:     hidden_hostcall_buffer
      - .offset:         144
        .size:           4
        .value_kind:     hidden_dynamic_lds_size
    .group_segment_fixed_size: 0
    .kernarg_segment_align: 8
    .kernarg_segment_size: 280
    .language:       OpenCL C
    .language_version:
      - 2
      - 0
    .max_flat_workgroup_size: 1024
    .name:           _Z32kernel_cg_group_partition_staticILj16EEvPibS0_
    .private_segment_fixed_size: 0
    .sgpr_count:     30
    .sgpr_spill_count: 0
    .symbol:         _Z32kernel_cg_group_partition_staticILj16EEvPibS0_.kd
    .uniform_work_group_size: 1
    .uses_dynamic_stack: false
    .vgpr_count:     36
    .vgpr_spill_count: 0
    .wavefront_size: 32
  - .args:
      - .address_space:  global
        .offset:         0
        .size:           8
        .value_kind:     global_buffer
      - .offset:         8
        .size:           1
        .value_kind:     by_value
      - .address_space:  global
        .offset:         16
        .size:           8
        .value_kind:     global_buffer
      - .offset:         24
        .size:           4
        .value_kind:     hidden_block_count_x
      - .offset:         28
        .size:           4
        .value_kind:     hidden_block_count_y
      - .offset:         32
        .size:           4
        .value_kind:     hidden_block_count_z
      - .offset:         36
        .size:           2
        .value_kind:     hidden_group_size_x
      - .offset:         38
        .size:           2
        .value_kind:     hidden_group_size_y
      - .offset:         40
        .size:           2
        .value_kind:     hidden_group_size_z
      - .offset:         42
        .size:           2
        .value_kind:     hidden_remainder_x
      - .offset:         44
        .size:           2
        .value_kind:     hidden_remainder_y
      - .offset:         46
        .size:           2
        .value_kind:     hidden_remainder_z
      - .offset:         64
        .size:           8
        .value_kind:     hidden_global_offset_x
      - .offset:         72
        .size:           8
        .value_kind:     hidden_global_offset_y
      - .offset:         80
        .size:           8
        .value_kind:     hidden_global_offset_z
      - .offset:         88
        .size:           2
        .value_kind:     hidden_grid_dims
      - .offset:         104
        .size:           8
        .value_kind:     hidden_hostcall_buffer
      - .offset:         144
        .size:           4
        .value_kind:     hidden_dynamic_lds_size
    .group_segment_fixed_size: 0
    .kernarg_segment_align: 8
    .kernarg_segment_size: 280
    .language:       OpenCL C
    .language_version:
      - 2
      - 0
    .max_flat_workgroup_size: 1024
    .name:           _Z32kernel_cg_group_partition_staticILj32EEvPibS0_
    .private_segment_fixed_size: 0
    .sgpr_count:     30
    .sgpr_spill_count: 0
    .symbol:         _Z32kernel_cg_group_partition_staticILj32EEvPibS0_.kd
    .uniform_work_group_size: 1
    .uses_dynamic_stack: false
    .vgpr_count:     36
    .vgpr_spill_count: 0
    .wavefront_size: 32
amdhsa.target:   amdgcn-amd-amdhsa--gfx1250
amdhsa.version:
  - 1
  - 2
...

	.end_amdgpu_metadata
